;; amdgpu-corpus repo=ROCm/rocFFT kind=compiled arch=gfx1201 opt=O3
	.text
	.amdgcn_target "amdgcn-amd-amdhsa--gfx1201"
	.amdhsa_code_object_version 6
	.protected	fft_rtc_back_len1960_factors_4_7_2_7_5_wgs_56_tpt_56_halfLds_dp_op_CI_CI_unitstride_sbrr_dirReg ; -- Begin function fft_rtc_back_len1960_factors_4_7_2_7_5_wgs_56_tpt_56_halfLds_dp_op_CI_CI_unitstride_sbrr_dirReg
	.globl	fft_rtc_back_len1960_factors_4_7_2_7_5_wgs_56_tpt_56_halfLds_dp_op_CI_CI_unitstride_sbrr_dirReg
	.p2align	8
	.type	fft_rtc_back_len1960_factors_4_7_2_7_5_wgs_56_tpt_56_halfLds_dp_op_CI_CI_unitstride_sbrr_dirReg,@function
fft_rtc_back_len1960_factors_4_7_2_7_5_wgs_56_tpt_56_halfLds_dp_op_CI_CI_unitstride_sbrr_dirReg: ; @fft_rtc_back_len1960_factors_4_7_2_7_5_wgs_56_tpt_56_halfLds_dp_op_CI_CI_unitstride_sbrr_dirReg
; %bb.0:
	s_clause 0x2
	s_load_b128 s[8:11], s[0:1], 0x0
	s_load_b128 s[4:7], s[0:1], 0x58
	;; [unrolled: 1-line block ×3, first 2 shown]
	v_mul_u32_u24_e32 v1, 0x493, v0
	v_mov_b32_e32 v3, 0
	s_delay_alu instid0(VALU_DEP_2) | instskip(NEXT) | instid1(VALU_DEP_1)
	v_lshrrev_b32_e32 v1, 16, v1
	v_add_nc_u32_e32 v5, ttmp9, v1
	v_mov_b32_e32 v1, 0
	v_mov_b32_e32 v2, 0
	;; [unrolled: 1-line block ×3, first 2 shown]
	s_wait_kmcnt 0x0
	v_cmp_lt_u64_e64 s2, s[10:11], 2
	s_delay_alu instid0(VALU_DEP_1)
	s_and_b32 vcc_lo, exec_lo, s2
	s_cbranch_vccnz .LBB0_8
; %bb.1:
	s_load_b64 s[2:3], s[0:1], 0x10
	v_mov_b32_e32 v1, 0
	v_mov_b32_e32 v2, 0
	s_add_nc_u64 s[16:17], s[14:15], 8
	s_add_nc_u64 s[18:19], s[12:13], 8
	s_mov_b64 s[20:21], 1
	s_delay_alu instid0(VALU_DEP_1)
	v_dual_mov_b32 v211, v2 :: v_dual_mov_b32 v210, v1
	s_wait_kmcnt 0x0
	s_add_nc_u64 s[22:23], s[2:3], 8
	s_mov_b32 s3, 0
.LBB0_2:                                ; =>This Inner Loop Header: Depth=1
	s_load_b64 s[24:25], s[22:23], 0x0
                                        ; implicit-def: $vgpr212_vgpr213
	s_mov_b32 s2, exec_lo
	s_wait_kmcnt 0x0
	v_or_b32_e32 v4, s25, v6
	s_delay_alu instid0(VALU_DEP_1)
	v_cmpx_ne_u64_e32 0, v[3:4]
	s_wait_alu 0xfffe
	s_xor_b32 s26, exec_lo, s2
	s_cbranch_execz .LBB0_4
; %bb.3:                                ;   in Loop: Header=BB0_2 Depth=1
	s_cvt_f32_u32 s2, s24
	s_cvt_f32_u32 s27, s25
	s_sub_nc_u64 s[30:31], 0, s[24:25]
	s_wait_alu 0xfffe
	s_delay_alu instid0(SALU_CYCLE_1) | instskip(SKIP_1) | instid1(SALU_CYCLE_2)
	s_fmamk_f32 s2, s27, 0x4f800000, s2
	s_wait_alu 0xfffe
	v_s_rcp_f32 s2, s2
	s_delay_alu instid0(TRANS32_DEP_1) | instskip(SKIP_1) | instid1(SALU_CYCLE_2)
	s_mul_f32 s2, s2, 0x5f7ffffc
	s_wait_alu 0xfffe
	s_mul_f32 s27, s2, 0x2f800000
	s_wait_alu 0xfffe
	s_delay_alu instid0(SALU_CYCLE_2) | instskip(SKIP_1) | instid1(SALU_CYCLE_2)
	s_trunc_f32 s27, s27
	s_wait_alu 0xfffe
	s_fmamk_f32 s2, s27, 0xcf800000, s2
	s_cvt_u32_f32 s29, s27
	s_wait_alu 0xfffe
	s_delay_alu instid0(SALU_CYCLE_1) | instskip(SKIP_1) | instid1(SALU_CYCLE_2)
	s_cvt_u32_f32 s28, s2
	s_wait_alu 0xfffe
	s_mul_u64 s[34:35], s[30:31], s[28:29]
	s_wait_alu 0xfffe
	s_mul_hi_u32 s37, s28, s35
	s_mul_i32 s36, s28, s35
	s_mul_hi_u32 s2, s28, s34
	s_mul_i32 s33, s29, s34
	s_wait_alu 0xfffe
	s_add_nc_u64 s[36:37], s[2:3], s[36:37]
	s_mul_hi_u32 s27, s29, s34
	s_mul_hi_u32 s38, s29, s35
	s_add_co_u32 s2, s36, s33
	s_wait_alu 0xfffe
	s_add_co_ci_u32 s2, s37, s27
	s_mul_i32 s34, s29, s35
	s_add_co_ci_u32 s35, s38, 0
	s_wait_alu 0xfffe
	s_add_nc_u64 s[34:35], s[2:3], s[34:35]
	s_wait_alu 0xfffe
	v_add_co_u32 v4, s2, s28, s34
	s_delay_alu instid0(VALU_DEP_1) | instskip(SKIP_1) | instid1(VALU_DEP_1)
	s_cmp_lg_u32 s2, 0
	s_add_co_ci_u32 s29, s29, s35
	v_readfirstlane_b32 s28, v4
	s_wait_alu 0xfffe
	s_delay_alu instid0(VALU_DEP_1)
	s_mul_u64 s[30:31], s[30:31], s[28:29]
	s_wait_alu 0xfffe
	s_mul_hi_u32 s35, s28, s31
	s_mul_i32 s34, s28, s31
	s_mul_hi_u32 s2, s28, s30
	s_mul_i32 s33, s29, s30
	s_wait_alu 0xfffe
	s_add_nc_u64 s[34:35], s[2:3], s[34:35]
	s_mul_hi_u32 s27, s29, s30
	s_mul_hi_u32 s28, s29, s31
	s_wait_alu 0xfffe
	s_add_co_u32 s2, s34, s33
	s_add_co_ci_u32 s2, s35, s27
	s_mul_i32 s30, s29, s31
	s_add_co_ci_u32 s31, s28, 0
	s_wait_alu 0xfffe
	s_add_nc_u64 s[30:31], s[2:3], s[30:31]
	s_wait_alu 0xfffe
	v_add_co_u32 v4, s2, v4, s30
	s_delay_alu instid0(VALU_DEP_1) | instskip(SKIP_1) | instid1(VALU_DEP_1)
	s_cmp_lg_u32 s2, 0
	s_add_co_ci_u32 s2, s29, s31
	v_mul_hi_u32 v13, v5, v4
	s_wait_alu 0xfffe
	v_mad_co_u64_u32 v[7:8], null, v5, s2, 0
	v_mad_co_u64_u32 v[9:10], null, v6, v4, 0
	;; [unrolled: 1-line block ×3, first 2 shown]
	s_delay_alu instid0(VALU_DEP_3) | instskip(SKIP_1) | instid1(VALU_DEP_4)
	v_add_co_u32 v4, vcc_lo, v13, v7
	s_wait_alu 0xfffd
	v_add_co_ci_u32_e32 v7, vcc_lo, 0, v8, vcc_lo
	s_delay_alu instid0(VALU_DEP_2) | instskip(SKIP_1) | instid1(VALU_DEP_2)
	v_add_co_u32 v4, vcc_lo, v4, v9
	s_wait_alu 0xfffd
	v_add_co_ci_u32_e32 v4, vcc_lo, v7, v10, vcc_lo
	s_wait_alu 0xfffd
	v_add_co_ci_u32_e32 v7, vcc_lo, 0, v12, vcc_lo
	s_delay_alu instid0(VALU_DEP_2) | instskip(SKIP_1) | instid1(VALU_DEP_2)
	v_add_co_u32 v4, vcc_lo, v4, v11
	s_wait_alu 0xfffd
	v_add_co_ci_u32_e32 v9, vcc_lo, 0, v7, vcc_lo
	s_delay_alu instid0(VALU_DEP_2) | instskip(SKIP_1) | instid1(VALU_DEP_3)
	v_mul_lo_u32 v10, s25, v4
	v_mad_co_u64_u32 v[7:8], null, s24, v4, 0
	v_mul_lo_u32 v11, s24, v9
	s_delay_alu instid0(VALU_DEP_2) | instskip(NEXT) | instid1(VALU_DEP_2)
	v_sub_co_u32 v7, vcc_lo, v5, v7
	v_add3_u32 v8, v8, v11, v10
	s_delay_alu instid0(VALU_DEP_1) | instskip(SKIP_1) | instid1(VALU_DEP_1)
	v_sub_nc_u32_e32 v10, v6, v8
	s_wait_alu 0xfffd
	v_subrev_co_ci_u32_e64 v10, s2, s25, v10, vcc_lo
	v_add_co_u32 v11, s2, v4, 2
	s_wait_alu 0xf1ff
	v_add_co_ci_u32_e64 v12, s2, 0, v9, s2
	v_sub_co_u32 v13, s2, v7, s24
	v_sub_co_ci_u32_e32 v8, vcc_lo, v6, v8, vcc_lo
	s_wait_alu 0xf1ff
	v_subrev_co_ci_u32_e64 v10, s2, 0, v10, s2
	s_delay_alu instid0(VALU_DEP_3) | instskip(NEXT) | instid1(VALU_DEP_3)
	v_cmp_le_u32_e32 vcc_lo, s24, v13
	v_cmp_eq_u32_e64 s2, s25, v8
	s_wait_alu 0xfffd
	v_cndmask_b32_e64 v13, 0, -1, vcc_lo
	v_cmp_le_u32_e32 vcc_lo, s25, v10
	s_wait_alu 0xfffd
	v_cndmask_b32_e64 v14, 0, -1, vcc_lo
	v_cmp_le_u32_e32 vcc_lo, s24, v7
	;; [unrolled: 3-line block ×3, first 2 shown]
	s_wait_alu 0xfffd
	v_cndmask_b32_e64 v15, 0, -1, vcc_lo
	v_cmp_eq_u32_e32 vcc_lo, s25, v10
	s_wait_alu 0xf1ff
	s_delay_alu instid0(VALU_DEP_2)
	v_cndmask_b32_e64 v7, v15, v7, s2
	s_wait_alu 0xfffd
	v_cndmask_b32_e32 v10, v14, v13, vcc_lo
	v_add_co_u32 v13, vcc_lo, v4, 1
	s_wait_alu 0xfffd
	v_add_co_ci_u32_e32 v14, vcc_lo, 0, v9, vcc_lo
	s_delay_alu instid0(VALU_DEP_3) | instskip(SKIP_1) | instid1(VALU_DEP_2)
	v_cmp_ne_u32_e32 vcc_lo, 0, v10
	s_wait_alu 0xfffd
	v_cndmask_b32_e32 v8, v14, v12, vcc_lo
	v_cndmask_b32_e32 v10, v13, v11, vcc_lo
	v_cmp_ne_u32_e32 vcc_lo, 0, v7
	s_wait_alu 0xfffd
	s_delay_alu instid0(VALU_DEP_2)
	v_dual_cndmask_b32 v213, v9, v8 :: v_dual_cndmask_b32 v212, v4, v10
.LBB0_4:                                ;   in Loop: Header=BB0_2 Depth=1
	s_wait_alu 0xfffe
	s_and_not1_saveexec_b32 s2, s26
	s_cbranch_execz .LBB0_6
; %bb.5:                                ;   in Loop: Header=BB0_2 Depth=1
	v_cvt_f32_u32_e32 v4, s24
	s_sub_co_i32 s26, 0, s24
	v_mov_b32_e32 v213, v3
	s_delay_alu instid0(VALU_DEP_2) | instskip(NEXT) | instid1(TRANS32_DEP_1)
	v_rcp_iflag_f32_e32 v4, v4
	v_mul_f32_e32 v4, 0x4f7ffffe, v4
	s_delay_alu instid0(VALU_DEP_1) | instskip(SKIP_1) | instid1(VALU_DEP_1)
	v_cvt_u32_f32_e32 v4, v4
	s_wait_alu 0xfffe
	v_mul_lo_u32 v7, s26, v4
	s_delay_alu instid0(VALU_DEP_1) | instskip(NEXT) | instid1(VALU_DEP_1)
	v_mul_hi_u32 v7, v4, v7
	v_add_nc_u32_e32 v4, v4, v7
	s_delay_alu instid0(VALU_DEP_1) | instskip(NEXT) | instid1(VALU_DEP_1)
	v_mul_hi_u32 v4, v5, v4
	v_mul_lo_u32 v7, v4, s24
	v_add_nc_u32_e32 v8, 1, v4
	s_delay_alu instid0(VALU_DEP_2) | instskip(NEXT) | instid1(VALU_DEP_1)
	v_sub_nc_u32_e32 v7, v5, v7
	v_subrev_nc_u32_e32 v9, s24, v7
	v_cmp_le_u32_e32 vcc_lo, s24, v7
	s_wait_alu 0xfffd
	s_delay_alu instid0(VALU_DEP_2) | instskip(NEXT) | instid1(VALU_DEP_1)
	v_dual_cndmask_b32 v7, v7, v9 :: v_dual_cndmask_b32 v4, v4, v8
	v_cmp_le_u32_e32 vcc_lo, s24, v7
	s_delay_alu instid0(VALU_DEP_2) | instskip(SKIP_1) | instid1(VALU_DEP_1)
	v_add_nc_u32_e32 v8, 1, v4
	s_wait_alu 0xfffd
	v_cndmask_b32_e32 v212, v4, v8, vcc_lo
.LBB0_6:                                ;   in Loop: Header=BB0_2 Depth=1
	s_wait_alu 0xfffe
	s_or_b32 exec_lo, exec_lo, s2
	v_mul_lo_u32 v4, v213, s24
	s_delay_alu instid0(VALU_DEP_2)
	v_mul_lo_u32 v9, v212, s25
	s_load_b64 s[26:27], s[18:19], 0x0
	v_mad_co_u64_u32 v[7:8], null, v212, s24, 0
	s_load_b64 s[24:25], s[16:17], 0x0
	s_add_nc_u64 s[20:21], s[20:21], 1
	s_add_nc_u64 s[16:17], s[16:17], 8
	s_wait_alu 0xfffe
	v_cmp_ge_u64_e64 s2, s[20:21], s[10:11]
	s_add_nc_u64 s[18:19], s[18:19], 8
	s_add_nc_u64 s[22:23], s[22:23], 8
	v_add3_u32 v4, v8, v9, v4
	v_sub_co_u32 v5, vcc_lo, v5, v7
	s_wait_alu 0xfffd
	s_delay_alu instid0(VALU_DEP_2) | instskip(SKIP_2) | instid1(VALU_DEP_1)
	v_sub_co_ci_u32_e32 v4, vcc_lo, v6, v4, vcc_lo
	s_and_b32 vcc_lo, exec_lo, s2
	s_wait_kmcnt 0x0
	v_mul_lo_u32 v6, s26, v4
	v_mul_lo_u32 v7, s27, v5
	v_mad_co_u64_u32 v[1:2], null, s26, v5, v[1:2]
	v_mul_lo_u32 v4, s24, v4
	v_mul_lo_u32 v8, s25, v5
	v_mad_co_u64_u32 v[210:211], null, s24, v5, v[210:211]
	s_delay_alu instid0(VALU_DEP_4) | instskip(NEXT) | instid1(VALU_DEP_2)
	v_add3_u32 v2, v7, v2, v6
	v_add3_u32 v211, v8, v211, v4
	s_wait_alu 0xfffe
	s_cbranch_vccnz .LBB0_9
; %bb.7:                                ;   in Loop: Header=BB0_2 Depth=1
	v_dual_mov_b32 v5, v212 :: v_dual_mov_b32 v6, v213
	s_branch .LBB0_2
.LBB0_8:
	v_dual_mov_b32 v211, v2 :: v_dual_mov_b32 v210, v1
	v_dual_mov_b32 v213, v6 :: v_dual_mov_b32 v212, v5
.LBB0_9:
	s_load_b64 s[0:1], s[0:1], 0x28
	v_mul_hi_u32 v3, 0x4924925, v0
	s_lshl_b64 s[10:11], s[10:11], 3
                                        ; implicit-def: $vgpr220
                                        ; implicit-def: $vgpr198
	s_wait_alu 0xfffe
	s_add_nc_u64 s[2:3], s[14:15], s[10:11]
	s_wait_kmcnt 0x0
	v_cmp_gt_u64_e32 vcc_lo, s[0:1], v[212:213]
	v_cmp_le_u64_e64 s0, s[0:1], v[212:213]
	s_delay_alu instid0(VALU_DEP_1)
	s_and_saveexec_b32 s1, s0
	s_wait_alu 0xfffe
	s_xor_b32 s0, exec_lo, s1
; %bb.10:
	v_mul_u32_u24_e32 v1, 56, v3
                                        ; implicit-def: $vgpr3
	s_delay_alu instid0(VALU_DEP_1) | instskip(NEXT) | instid1(VALU_DEP_1)
	v_sub_nc_u32_e32 v220, v0, v1
                                        ; implicit-def: $vgpr0
                                        ; implicit-def: $vgpr1_vgpr2
	v_or_b32_e32 v198, 0x1c0, v220
; %bb.11:
	s_wait_alu 0xfffe
	s_or_saveexec_b32 s1, s0
	s_load_b64 s[2:3], s[2:3], 0x0
                                        ; implicit-def: $vgpr4_vgpr5
                                        ; implicit-def: $vgpr110_vgpr111
                                        ; implicit-def: $vgpr8_vgpr9
                                        ; implicit-def: $vgpr106_vgpr107
                                        ; implicit-def: $vgpr12_vgpr13
                                        ; implicit-def: $vgpr102_vgpr103
                                        ; implicit-def: $vgpr26_vgpr27
                                        ; implicit-def: $vgpr98_vgpr99
                                        ; implicit-def: $vgpr30_vgpr31
                                        ; implicit-def: $vgpr94_vgpr95
                                        ; implicit-def: $vgpr34_vgpr35
                                        ; implicit-def: $vgpr90_vgpr91
                                        ; implicit-def: $vgpr38_vgpr39
                                        ; implicit-def: $vgpr86_vgpr87
                                        ; implicit-def: $vgpr42_vgpr43
                                        ; implicit-def: $vgpr82_vgpr83
                                        ; implicit-def: $vgpr22_vgpr23
                                        ; implicit-def: $vgpr78_vgpr79
                                        ; implicit-def: $vgpr114_vgpr115
                                        ; implicit-def: $vgpr16_vgpr17
                                        ; implicit-def: $vgpr142_vgpr143
                                        ; implicit-def: $vgpr46_vgpr47
                                        ; implicit-def: $vgpr146_vgpr147
                                        ; implicit-def: $vgpr74_vgpr75
                                        ; implicit-def: $vgpr134_vgpr135
                                        ; implicit-def: $vgpr58_vgpr59
                                        ; implicit-def: $vgpr138_vgpr139
                                        ; implicit-def: $vgpr70_vgpr71
                                        ; implicit-def: $vgpr126_vgpr127
                                        ; implicit-def: $vgpr54_vgpr55
                                        ; implicit-def: $vgpr130_vgpr131
                                        ; implicit-def: $vgpr66_vgpr67
                                        ; implicit-def: $vgpr118_vgpr119
                                        ; implicit-def: $vgpr50_vgpr51
                                        ; implicit-def: $vgpr122_vgpr123
                                        ; implicit-def: $vgpr62_vgpr63
	s_xor_b32 exec_lo, exec_lo, s1
	s_cbranch_execz .LBB0_15
; %bb.12:
	s_add_nc_u64 s[10:11], s[12:13], s[10:11]
	v_lshlrev_b64_e32 v[1:2], 4, v[1:2]
	s_load_b64 s[10:11], s[10:11], 0x0
                                        ; implicit-def: $vgpr14_vgpr15
                                        ; implicit-def: $vgpr112_vgpr113
                                        ; implicit-def: $vgpr76_vgpr77
                                        ; implicit-def: $vgpr20_vgpr21
	s_wait_kmcnt 0x0
	v_mul_lo_u32 v6, s11, v212
	v_mul_lo_u32 v7, s10, v213
	v_mad_co_u64_u32 v[4:5], null, s10, v212, 0
	s_delay_alu instid0(VALU_DEP_1) | instskip(SKIP_1) | instid1(VALU_DEP_2)
	v_add3_u32 v5, v5, v7, v6
	v_mul_u32_u24_e32 v6, 56, v3
	v_lshlrev_b64_e32 v[3:4], 4, v[4:5]
	s_delay_alu instid0(VALU_DEP_2) | instskip(NEXT) | instid1(VALU_DEP_1)
	v_sub_nc_u32_e32 v220, v0, v6
	v_or_b32_e32 v198, 0x1c0, v220
	s_delay_alu instid0(VALU_DEP_3) | instskip(SKIP_1) | instid1(VALU_DEP_4)
	v_add_co_u32 v0, s0, s4, v3
	s_wait_alu 0xf1ff
	v_add_co_ci_u32_e64 v3, s0, s5, v4, s0
	v_lshlrev_b32_e32 v4, 4, v220
	s_delay_alu instid0(VALU_DEP_3) | instskip(SKIP_1) | instid1(VALU_DEP_3)
	v_add_co_u32 v0, s0, v0, v1
	s_wait_alu 0xf1ff
	v_add_co_ci_u32_e64 v1, s0, v3, v2, s0
	s_mov_b32 s4, exec_lo
	s_delay_alu instid0(VALU_DEP_2) | instskip(SKIP_1) | instid1(VALU_DEP_2)
	v_add_co_u32 v0, s0, v0, v4
	s_wait_alu 0xf1ff
	v_add_co_ci_u32_e64 v1, s0, 0, v1, s0
	s_clause 0x1f
	global_load_b128 v[60:63], v[0:1], off
	global_load_b128 v[48:51], v[0:1], off offset:896
	global_load_b128 v[2:5], v[0:1], off offset:7840
	global_load_b128 v[6:9], v[0:1], off offset:8736
	global_load_b128 v[108:111], v[0:1], off offset:15680
	global_load_b128 v[104:107], v[0:1], off offset:16576
	global_load_b128 v[120:123], v[0:1], off offset:23520
	global_load_b128 v[116:119], v[0:1], off offset:24416
	global_load_b128 v[64:67], v[0:1], off offset:1792
	global_load_b128 v[52:55], v[0:1], off offset:2688
	global_load_b128 v[10:13], v[0:1], off offset:9632
	global_load_b128 v[24:27], v[0:1], off offset:10528
	global_load_b128 v[100:103], v[0:1], off offset:17472
	global_load_b128 v[96:99], v[0:1], off offset:18368
	global_load_b128 v[128:131], v[0:1], off offset:25312
	global_load_b128 v[124:127], v[0:1], off offset:26208
	global_load_b128 v[68:71], v[0:1], off offset:3584
	global_load_b128 v[56:59], v[0:1], off offset:4480
	global_load_b128 v[28:31], v[0:1], off offset:11424
	global_load_b128 v[32:35], v[0:1], off offset:12320
	global_load_b128 v[92:95], v[0:1], off offset:19264
	global_load_b128 v[88:91], v[0:1], off offset:20160
	global_load_b128 v[136:139], v[0:1], off offset:27104
	global_load_b128 v[132:135], v[0:1], off offset:28000
	global_load_b128 v[72:75], v[0:1], off offset:5376
	global_load_b128 v[44:47], v[0:1], off offset:6272
	global_load_b128 v[36:39], v[0:1], off offset:13216
	global_load_b128 v[40:43], v[0:1], off offset:14112
	global_load_b128 v[84:87], v[0:1], off offset:21056
	global_load_b128 v[80:83], v[0:1], off offset:21952
	global_load_b128 v[144:147], v[0:1], off offset:28896
	global_load_b128 v[140:143], v[0:1], off offset:29792
	v_cmpx_gt_u32_e32 0x1ea, v198
; %bb.13:
	s_clause 0x3
	global_load_b128 v[14:17], v[0:1], off offset:7168
	global_load_b128 v[20:23], v[0:1], off offset:15008
	;; [unrolled: 1-line block ×4, first 2 shown]
; %bb.14:
	s_wait_alu 0xfffe
	s_or_b32 exec_lo, exec_lo, s4
.LBB0_15:
	s_delay_alu instid0(SALU_CYCLE_1)
	s_or_b32 exec_lo, exec_lo, s1
	s_wait_loadcnt 0x13
	v_add_f64_e64 v[174:175], v[64:65], -v[100:101]
	s_wait_loadcnt 0x11
	v_add_f64_e64 v[100:101], v[10:11], -v[128:129]
	v_add_f64_e64 v[0:1], v[60:61], -v[108:109]
	v_add_f64_e64 v[18:19], v[2:3], -v[120:121]
	v_add_f64_e64 v[170:171], v[48:49], -v[104:105]
	v_add_f64_e64 v[104:105], v[6:7], -v[116:117]
	v_add_f64_e64 v[178:179], v[52:53], -v[96:97]
	s_wait_loadcnt 0x10
	v_add_f64_e64 v[96:97], v[24:25], -v[124:125]
	s_wait_loadcnt 0xb
	v_add_f64_e64 v[182:183], v[68:69], -v[92:93]
	;; [unrolled: 2-line block ×3, first 2 shown]
	v_add_f64_e64 v[186:187], v[56:57], -v[88:89]
	s_wait_loadcnt 0x8
	v_add_f64_e64 v[88:89], v[32:33], -v[132:133]
	s_wait_loadcnt 0x3
	;; [unrolled: 2-line block ×3, first 2 shown]
	v_add_f64_e64 v[84:85], v[36:37], -v[144:145]
	v_add_f64_e64 v[194:195], v[44:45], -v[80:81]
	s_wait_loadcnt 0x0
	v_add_f64_e64 v[80:81], v[40:41], -v[140:141]
	v_add_f64_e64 v[132:133], v[4:5], -v[122:123]
	;; [unrolled: 1-line block ×9, first 2 shown]
	v_cmp_gt_u32_e64 s0, 42, v220
	v_fma_f64 v[64:65], v[64:65], 2.0, -v[174:175]
	v_fma_f64 v[10:11], v[10:11], 2.0, -v[100:101]
	;; [unrolled: 1-line block ×16, first 2 shown]
	v_add_f64_e64 v[48:49], v[22:23], -v[114:115]
	v_add_f64_e32 v[136:137], v[132:133], v[0:1]
	v_add_f64_e32 v[140:141], v[128:129], v[170:171]
	v_add_f64_e32 v[144:145], v[124:125], v[174:175]
	v_add_f64_e32 v[148:149], v[122:123], v[178:179]
	v_add_f64_e32 v[152:153], v[120:121], v[182:183]
	v_add_f64_e32 v[156:157], v[118:119], v[186:187]
	v_add_f64_e32 v[160:161], v[116:117], v[190:191]
	v_add_f64_e32 v[164:165], v[108:109], v[194:195]
	v_add_f64_e64 v[142:143], v[64:65], -v[10:11]
	v_add_f64_e64 v[10:11], v[14:15], -v[76:77]
	;; [unrolled: 1-line block ×6, first 2 shown]
	v_add_nc_u32_e32 v24, 0x118, v220
	v_add_f64_e64 v[150:151], v[68:69], -v[28:29]
	v_add_nc_u32_e32 v25, 0x150, v220
	v_add_f64_e64 v[154:155], v[56:57], -v[32:33]
	;; [unrolled: 2-line block ×3, first 2 shown]
	v_add_f64_e64 v[162:163], v[44:45], -v[40:41]
	v_fma_f64 v[168:169], v[0:1], 2.0, -v[136:137]
	v_fma_f64 v[172:173], v[170:171], 2.0, -v[140:141]
	;; [unrolled: 1-line block ×9, first 2 shown]
	v_add_f64_e32 v[2:3], v[48:49], v[10:11]
	v_fma_f64 v[166:167], v[60:61], 2.0, -v[134:135]
	v_lshl_add_u32 v65, v220, 5, 0
	v_fma_f64 v[170:171], v[126:127], 2.0, -v[138:139]
	v_fma_f64 v[178:179], v[52:53], 2.0, -v[146:147]
	v_lshl_add_u32 v52, v198, 5, 0
	v_fma_f64 v[182:183], v[68:69], 2.0, -v[150:151]
	v_lshl_add_u32 v53, v28, 5, 0
	;; [unrolled: 2-line block ×4, first 2 shown]
	v_fma_f64 v[194:195], v[44:45], 2.0, -v[162:163]
	scratch_store_b128 off, v[0:3], off offset:16 ; 16-byte Folded Spill
	v_add_nc_u32_e32 v0, 56, v220
	v_add_nc_u32_e32 v1, 0x70, v220
	;; [unrolled: 1-line block ×4, first 2 shown]
	s_delay_alu instid0(VALU_DEP_4) | instskip(NEXT) | instid1(VALU_DEP_4)
	v_lshl_add_u32 v68, v0, 5, 0
	v_lshl_add_u32 v64, v1, 5, 0
	s_delay_alu instid0(VALU_DEP_4) | instskip(NEXT) | instid1(VALU_DEP_4)
	v_lshl_add_u32 v61, v2, 5, 0
	v_lshl_add_u32 v60, v3, 5, 0
	ds_store_b128 v65, v[166:169]
	ds_store_b128 v65, v[134:137] offset:16
	ds_store_b128 v68, v[170:173]
	ds_store_b128 v68, v[138:141] offset:16
	;; [unrolled: 2-line block ×8, first 2 shown]
	s_and_saveexec_b32 s1, s0
	s_cbranch_execz .LBB0_17
; %bb.16:
	v_fma_f64 v[14:15], v[14:15], 2.0, -v[10:11]
	v_fma_f64 v[0:1], v[20:21], 2.0, -v[6:7]
	v_add_f64_e32 v[136:137], v[48:49], v[10:11]
	s_delay_alu instid0(VALU_DEP_2) | instskip(NEXT) | instid1(VALU_DEP_2)
	v_add_f64_e64 v[134:135], v[14:15], -v[0:1]
	v_fma_f64 v[114:115], v[10:11], 2.0, -v[136:137]
	v_dual_mov_b32 v2, v136 :: v_dual_mov_b32 v3, v137
	scratch_store_b128 off, v[0:3], off offset:16 ; 16-byte Folded Spill
	v_fma_f64 v[112:113], v[14:15], 2.0, -v[134:135]
	ds_store_b128 v52, v[134:137] offset:16
	ds_store_b128 v52, v[112:115]
.LBB0_17:
	s_wait_alu 0xfffe
	s_or_b32 exec_lo, exec_lo, s1
	v_add_f64_e64 v[0:1], v[62:63], -v[110:111]
	v_add_f64_e64 v[20:21], v[50:51], -v[106:107]
	;; [unrolled: 1-line block ×8, first 2 shown]
	v_fma_f64 v[4:5], v[4:5], 2.0, -v[132:133]
	v_fma_f64 v[8:9], v[8:9], 2.0, -v[128:129]
	v_fma_f64 v[10:11], v[12:13], 2.0, -v[124:125]
	v_fma_f64 v[12:13], v[26:27], 2.0, -v[122:123]
	v_fma_f64 v[14:15], v[30:31], 2.0, -v[120:121]
	v_fma_f64 v[42:43], v[42:43], 2.0, -v[108:109]
	v_fma_f64 v[34:35], v[34:35], 2.0, -v[118:119]
	v_fma_f64 v[38:39], v[38:39], 2.0, -v[116:117]
	v_lshl_add_u32 v221, v220, 3, 0
	scratch_store_b32 off, v198, off offset:48 ; 4-byte Folded Spill
	global_wb scope:SCOPE_SE
	s_wait_storecnt_dscnt 0x0
	s_wait_kmcnt 0x0
	s_barrier_signal -1
	s_barrier_wait -1
	v_add_nc_u32_e32 v170, 0x400, v221
	v_add_nc_u32_e32 v209, 0x1000, v221
	;; [unrolled: 1-line block ×3, first 2 shown]
	global_inv scope:SCOPE_SE
	v_add_nc_u32_e32 v173, 0x2000, v221
	v_add_nc_u32_e32 v208, 0x2800, v221
	;; [unrolled: 1-line block ×7, first 2 shown]
	v_fma_f64 v[62:63], v[62:63], 2.0, -v[0:1]
	v_fma_f64 v[72:73], v[50:51], 2.0, -v[20:21]
	v_add_f64_e64 v[50:51], v[16:17], -v[78:79]
	v_fma_f64 v[66:67], v[66:67], 2.0, -v[24:25]
	v_fma_f64 v[26:27], v[54:55], 2.0, -v[28:29]
	;; [unrolled: 1-line block ×6, first 2 shown]
	v_add_f64_e64 v[114:115], v[0:1], -v[18:19]
	v_add_f64_e64 v[118:119], v[20:21], -v[104:105]
	;; [unrolled: 1-line block ×17, first 2 shown]
	v_fma_f64 v[78:79], v[0:1], 2.0, -v[114:115]
	v_fma_f64 v[144:145], v[20:21], 2.0, -v[118:119]
	ds_load_2addr_b64 v[8:11], v221 offset1:56
	ds_load_2addr_b64 v[12:15], v221 offset0:112 offset1:168
	v_fma_f64 v[148:149], v[24:25], 2.0, -v[124:125]
	v_fma_f64 v[152:153], v[28:29], 2.0, -v[128:129]
	;; [unrolled: 1-line block ×8, first 2 shown]
	scratch_store_b128 off, v[0:3], off     ; 16-byte Folded Spill
	v_fma_f64 v[146:147], v[66:67], 2.0, -v[122:123]
	v_fma_f64 v[150:151], v[26:27], 2.0, -v[126:127]
	;; [unrolled: 1-line block ×4, first 2 shown]
	ds_load_b64 v[0:1], v221 offset:15232
	ds_load_2addr_b64 v[18:21], v170 offset0:96 offset1:152
	ds_load_2addr_b64 v[100:103], v209 offset0:48 offset1:104
	;; [unrolled: 1-line block ×11, first 2 shown]
	ds_load_2addr_b64 v[80:83], v120 offset1:56
	ds_load_2addr_b64 v[104:107], v206 offset0:192 offset1:248
	ds_load_2addr_b64 v[36:39], v171 offset0:112 offset1:168
	;; [unrolled: 1-line block ×3, first 2 shown]
	v_fma_f64 v[158:159], v[54:55], 2.0, -v[88:89]
	v_fma_f64 v[162:163], v[58:59], 2.0, -v[134:135]
	global_wb scope:SCOPE_SE
	s_wait_storecnt_dscnt 0x0
	s_barrier_signal -1
	s_barrier_wait -1
	global_inv scope:SCOPE_SE
	ds_store_b128 v65, v[76:79]
	ds_store_b128 v65, v[112:115] offset:16
	ds_store_b128 v68, v[142:145]
	ds_store_b128 v68, v[116:119] offset:16
	;; [unrolled: 2-line block ×8, first 2 shown]
	s_and_saveexec_b32 s1, s0
	s_cbranch_execz .LBB0_19
; %bb.18:
	scratch_load_b128 v[53:56], off, off th:TH_LOAD_LU ; 16-byte Folded Reload
	v_fma_f64 v[16:17], v[16:17], 2.0, -v[50:51]
	v_fma_f64 v[4:5], v[22:23], 2.0, -v[48:49]
	s_delay_alu instid0(VALU_DEP_1) | instskip(NEXT) | instid1(VALU_DEP_1)
	v_add_f64_e64 v[4:5], v[16:17], -v[4:5]
	v_fma_f64 v[48:49], v[16:17], 2.0, -v[4:5]
	s_wait_loadcnt 0x0
	v_dual_mov_b32 v6, v55 :: v_dual_mov_b32 v7, v56
	v_dual_mov_b32 v2, v55 :: v_dual_mov_b32 v3, v56
	s_delay_alu instid0(VALU_DEP_2)
	v_fma_f64 v[50:51], v[50:51], 2.0, -v[6:7]
	ds_store_b128 v52, v[4:7] offset:16
	scratch_store_b128 off, v[0:3], off     ; 16-byte Folded Spill
	ds_store_b128 v52, v[48:51]
.LBB0_19:
	s_wait_alu 0xfffe
	s_or_b32 exec_lo, exec_lo, s1
	v_and_b32_e32 v4, 3, v220
	global_wb scope:SCOPE_SE
	s_wait_storecnt_dscnt 0x0
	s_barrier_signal -1
	s_barrier_wait -1
	global_inv scope:SCOPE_SE
	v_mul_u32_u24_e32 v2, 6, v4
	s_mov_b32 s18, 0x37e14327
	s_mov_b32 s20, 0xe976ee23
	s_mov_b32 s14, 0x429ad128
	s_mov_b32 s19, 0x3fe948f6
	v_lshlrev_b32_e32 v2, 4, v2
	s_mov_b32 s4, 0x36b3c0b5
	s_mov_b32 s21, 0x3fe11646
	;; [unrolled: 1-line block ×4, first 2 shown]
	s_clause 0x5
	global_load_b128 v[124:127], v2, s[8:9]
	global_load_b128 v[68:71], v2, s[8:9] offset:16
	global_load_b128 v[48:51], v2, s[8:9] offset:80
	;; [unrolled: 1-line block ×5, first 2 shown]
	ds_load_2addr_b64 v[128:131], v206 offset0:80 offset1:136
	ds_load_2addr_b64 v[142:145], v206 offset0:192 offset1:248
	;; [unrolled: 1-line block ×13, first 2 shown]
	ds_load_2addr_b64 v[188:191], v120 offset1:56
	ds_load_2addr_b64 v[216:219], v207 offset0:32 offset1:88
	ds_load_b64 v[16:17], v221 offset:15232
	s_mov_b32 s12, 0xaaaaaaaa
	s_mov_b32 s22, 0xb247c609
	;; [unrolled: 1-line block ×9, first 2 shown]
	s_wait_alu 0xfffe
	s_mov_b32 s16, s10
	s_mov_b32 s26, 0x37c3f68c
	;; [unrolled: 1-line block ×3, first 2 shown]
	v_cmp_gt_u32_e64 s0, 28, v220
	v_add_nc_u32_e32 v7, 0x70, v220
	s_wait_loadcnt 0x5
	v_mul_f64_e32 v[158:159], v[106:107], v[126:127]
	s_wait_dscnt 0xd
	v_mul_f64_e32 v[160:161], v[66:67], v[126:127]
	v_mul_f64_e32 v[122:123], v[130:131], v[126:127]
	v_mul_f64_e32 v[132:133], v[108:109], v[126:127]
	v_mul_f64_e32 v[134:135], v[110:111], v[126:127]
	v_mul_f64_e32 v[138:139], v[142:143], v[126:127]
	v_mul_f64_e32 v[22:23], v[128:129], v[126:127]
	v_mul_f64_e32 v[146:147], v[144:145], v[126:127]
	v_mul_f64_e32 v[156:157], v[104:105], v[126:127]
	v_mul_f64_e32 v[126:127], v[20:21], v[126:127]
	s_wait_loadcnt_dscnt 0x40c
	v_mul_f64_e32 v[162:163], v[148:149], v[70:71]
	s_wait_loadcnt 0x0
	v_mul_f64_e32 v[236:237], v[32:33], v[58:59]
	s_wait_dscnt 0x6
	v_mul_f64_e32 v[140:141], v[166:167], v[78:79]
	v_mul_f64_e32 v[204:205], v[42:43], v[78:79]
	;; [unrolled: 1-line block ×6, first 2 shown]
	s_wait_dscnt 0x3
	v_mul_f64_e32 v[226:227], v[182:183], v[54:55]
	v_mul_f64_e32 v[198:199], v[152:153], v[70:71]
	;; [unrolled: 1-line block ×4, first 2 shown]
	s_wait_dscnt 0x2
	v_mul_f64_e32 v[2:3], v[188:189], v[50:51]
	v_mul_f64_e32 v[186:187], v[100:101], v[70:71]
	;; [unrolled: 1-line block ×16, first 2 shown]
	v_fma_f64 v[252:253], v[144:145], v[124:125], -v[158:159]
	v_fma_f64 v[158:159], v[20:21], v[124:125], v[160:161]
	v_fma_f64 v[244:245], v[110:111], v[124:125], v[122:123]
	v_fma_f64 v[132:133], v[128:129], v[124:125], -v[132:133]
	v_fma_f64 v[122:123], v[130:131], v[124:125], -v[134:135]
	v_mul_f64_e32 v[128:129], v[190:191], v[50:51]
	s_wait_dscnt 0x1
	v_mul_f64_e32 v[130:131], v[216:217], v[54:55]
	v_fma_f64 v[246:247], v[104:105], v[124:125], v[138:139]
	v_mul_f64_e32 v[104:105], v[218:219], v[54:55]
	s_wait_dscnt 0x0
	v_mul_f64_e32 v[110:111], v[16:17], v[50:51]
	v_fma_f64 v[248:249], v[108:109], v[124:125], v[22:23]
	v_fma_f64 v[5:6], v[106:107], v[124:125], v[146:147]
	v_fma_f64 v[134:135], v[142:143], v[124:125], -v[156:157]
	v_fma_f64 v[146:147], v[66:67], v[124:125], -v[126:127]
	v_fma_f64 v[124:125], v[100:101], v[68:69], v[162:163]
	v_fma_f64 v[162:163], v[112:113], v[56:57], -v[236:237]
	v_fma_f64 v[112:113], v[42:43], v[76:77], v[140:141]
	v_mul_f64_e32 v[22:23], v[114:115], v[58:59]
	v_fma_f64 v[100:101], v[102:103], v[68:69], v[172:173]
	v_fma_f64 v[96:97], v[96:97], v[48:49], v[168:169]
	;; [unrolled: 1-line block ×3, first 2 shown]
	v_mul_f64_e32 v[108:109], v[34:35], v[58:59]
	v_mul_f64_e32 v[106:107], v[180:181], v[58:59]
	;; [unrolled: 1-line block ×7, first 2 shown]
	v_fma_f64 v[98:99], v[98:99], v[48:49], v[250:251]
	v_fma_f64 v[126:127], v[84:85], v[52:53], v[226:227]
	v_mul_f64_e32 v[254:255], v[36:37], v[78:79]
	v_mul_f64_e32 v[170:171], v[86:87], v[54:55]
	v_fma_f64 v[92:93], v[92:93], v[68:69], v[198:199]
	v_fma_f64 v[84:85], v[94:95], v[68:69], v[200:201]
	;; [unrolled: 1-line block ×4, first 2 shown]
	v_mul_f64_e32 v[198:199], v[80:81], v[50:51]
	v_mul_f64_e32 v[214:215], v[174:175], v[78:79]
	;; [unrolled: 1-line block ×3, first 2 shown]
	v_dual_mov_b32 v140, v158 :: v_dual_mov_b32 v141, v159
	v_fma_f64 v[158:159], v[166:167], v[76:77], -v[204:205]
	scratch_load_b32 v204, off, off offset:48 ; 4-byte Folded Reload
	v_mul_f64_e32 v[78:79], v[38:39], v[78:79]
	v_fma_f64 v[148:149], v[148:149], v[68:69], -v[186:187]
	v_mul_f64_e32 v[186:187], v[44:45], v[54:55]
	v_mul_f64_e32 v[2:3], v[82:83], v[50:51]
	v_fma_f64 v[82:83], v[82:83], v[48:49], v[128:129]
	v_fma_f64 v[130:131], v[44:45], v[52:53], v[130:131]
	v_fma_f64 v[144:145], v[150:151], v[68:69], -v[196:197]
	v_mul_f64_e32 v[54:55], v[46:47], v[54:55]
	v_mul_f64_e32 v[50:51], v[0:1], v[50:51]
	v_fma_f64 v[138:139], v[154:155], v[68:69], -v[230:231]
	v_fma_f64 v[128:129], v[72:73], v[68:69], v[234:235]
	v_fma_f64 v[150:151], v[0:1], v[48:49], v[110:111]
	;; [unrolled: 1-line block ×3, first 2 shown]
	v_fma_f64 v[142:143], v[152:153], v[68:69], -v[228:229]
	v_fma_f64 v[250:251], v[74:75], v[76:77], v[192:193]
	v_fma_f64 v[118:119], v[118:119], v[76:77], -v[194:195]
	v_fma_f64 v[152:153], v[62:63], v[52:53], -v[238:239]
	v_fma_f64 v[160:161], v[32:33], v[56:57], v[232:233]
	v_fma_f64 v[200:201], v[88:89], v[48:49], -v[240:241]
	v_fma_f64 v[166:167], v[34:35], v[56:57], v[22:23]
	v_add_f64_e32 v[0:1], v[140:141], v[96:97]
	v_add_f64_e32 v[22:23], v[124:125], v[102:103]
	v_fma_f64 v[156:157], v[40:41], v[76:77], v[242:243]
	v_fma_f64 v[164:165], v[164:165], v[76:77], -v[136:137]
	v_fma_f64 v[194:195], v[182:183], v[52:53], -v[172:173]
	;; [unrolled: 1-line block ×4, first 2 shown]
	v_add_f64_e32 v[32:33], v[248:249], v[98:99]
	v_add_f64_e32 v[34:35], v[100:101], v[126:127]
	v_fma_f64 v[168:169], v[116:117], v[68:69], -v[70:71]
	v_fma_f64 v[116:117], v[174:175], v[76:77], -v[254:255]
	;; [unrolled: 1-line block ×4, first 2 shown]
	v_fma_f64 v[170:171], v[28:29], v[56:57], v[120:121]
	v_add_f64_e32 v[20:21], v[244:245], v[94:95]
	v_add_f64_e32 v[28:29], v[92:93], v[86:87]
	v_fma_f64 v[188:189], v[188:189], v[48:49], -v[198:199]
	v_dual_mov_b32 v243, v6 :: v_dual_mov_b32 v242, v5
	v_fma_f64 v[88:89], v[36:37], v[76:77], v[214:215]
	v_fma_f64 v[90:91], v[176:177], v[76:77], -v[78:79]
	v_fma_f64 v[178:179], v[30:31], v[56:57], v[106:107]
	v_fma_f64 v[182:183], v[216:217], v[52:53], -v[186:187]
	v_fma_f64 v[180:181], v[180:181], v[56:57], -v[66:67]
	v_fma_f64 v[176:177], v[24:25], v[56:57], v[202:203]
	v_add_f64_e32 v[24:25], v[246:247], v[82:83]
	v_add_f64_e32 v[30:31], v[84:85], v[130:131]
	v_fma_f64 v[198:199], v[190:191], v[48:49], -v[2:3]
	v_fma_f64 v[114:115], v[38:39], v[76:77], v[222:223]
	v_fma_f64 v[190:191], v[218:219], v[52:53], -v[54:55]
	v_fma_f64 v[186:187], v[60:61], v[56:57], -v[26:27]
	;; [unrolled: 1-line block ×3, first 2 shown]
	v_add_f64_e32 v[2:3], v[242:243], v[150:151]
	v_add_f64_e32 v[16:17], v[128:129], v[154:155]
	v_add_f64_e64 v[26:27], v[148:149], -v[152:153]
	v_add_f64_e64 v[36:37], v[162:163], -v[118:119]
	;; [unrolled: 1-line block ×3, first 2 shown]
	v_add_f64_e32 v[40:41], v[250:251], v[160:161]
	v_add_nc_u32_e32 v6, 56, v220
	v_add_f64_e32 v[46:47], v[22:23], v[0:1]
	v_add_f64_e32 v[44:45], v[156:157], v[166:167]
	v_lshrrev_b32_e32 v5, 2, v220
	v_add_f64_e64 v[42:43], v[144:145], -v[194:195]
	v_add_f64_e64 v[48:49], v[172:173], -v[164:165]
	;; [unrolled: 1-line block ×3, first 2 shown]
	v_add_f64_e32 v[54:55], v[34:35], v[32:33]
	v_mul_u32_u24_e32 v5, 28, v5
	v_add_f64_e64 v[52:53], v[142:143], -v[184:185]
	v_add_f64_e64 v[56:57], v[174:175], -v[158:159]
	v_add_f64_e32 v[58:59], v[112:113], v[170:171]
	s_delay_alu instid0(VALU_DEP_4)
	v_or_b32_e32 v5, v5, v4
	v_add_f64_e32 v[62:63], v[28:29], v[20:21]
	v_add_f64_e64 v[60:61], v[122:123], -v[188:189]
	v_add_f64_e32 v[66:67], v[88:89], v[178:179]
	v_add_f64_e64 v[68:69], v[138:139], -v[182:183]
	v_add_f64_e64 v[70:71], v[180:181], -v[116:117]
	v_add_f64_e32 v[72:73], v[30:31], v[24:25]
	v_add_f64_e64 v[74:75], v[134:135], -v[198:199]
	v_add_f64_e32 v[80:81], v[114:115], v[176:177]
	v_add_f64_e64 v[76:77], v[168:169], -v[190:191]
	v_add_f64_e64 v[78:79], v[186:187], -v[90:91]
	;; [unrolled: 1-line block ×3, first 2 shown]
	v_add_f64_e32 v[106:107], v[16:17], v[2:3]
	v_add_f64_e64 v[108:109], v[36:37], -v[26:27]
	v_add_f64_e64 v[110:111], v[26:27], -v[38:39]
	;; [unrolled: 1-line block ×4, first 2 shown]
	v_add_f64_e32 v[40:41], v[40:41], v[46:47]
	v_add_f64_e32 v[26:27], v[36:37], v[26:27]
	v_add_f64_e64 v[216:217], v[32:33], -v[44:45]
	v_add_f64_e64 v[46:47], v[44:45], -v[34:35]
	;; [unrolled: 1-line block ×3, first 2 shown]
	v_add_f64_e32 v[222:223], v[48:49], v[42:43]
	v_add_f64_e64 v[42:43], v[42:43], -v[50:51]
	v_add_f64_e32 v[44:45], v[44:45], v[54:55]
	v_add_f64_e64 v[0:1], v[22:23], -v[0:1]
	v_add_f64_e64 v[22:23], v[34:35], -v[32:33]
	;; [unrolled: 1-line block ×4, first 2 shown]
	v_add_f64_e32 v[224:225], v[56:57], v[52:53]
	v_add_f64_e64 v[226:227], v[20:21], -v[58:59]
	v_add_f64_e64 v[228:229], v[58:59], -v[28:29]
	v_add_f64_e32 v[58:59], v[58:59], v[62:63]
	v_add_f64_e64 v[52:53], v[52:53], -v[60:61]
	v_add_f64_e64 v[20:21], v[28:29], -v[20:21]
	;; [unrolled: 1-line block ×8, first 2 shown]
	v_add_f64_e32 v[32:33], v[66:67], v[72:73]
	v_add_f64_e64 v[34:35], v[68:69], -v[74:75]
	v_add_f64_e64 v[72:73], v[80:81], -v[16:17]
	v_add_f64_e32 v[68:69], v[70:71], v[68:69]
	v_add_f64_e64 v[66:67], v[78:79], -v[76:77]
	v_add_f64_e64 v[234:235], v[76:77], -v[104:105]
	v_add_f64_e32 v[30:31], v[78:79], v[76:77]
	v_add_f64_e32 v[106:107], v[80:81], v[106:107]
	v_add_f64_e64 v[80:81], v[2:3], -v[80:81]
	v_mul_f64_e32 v[56:57], s[20:21], v[108:109]
	v_mul_f64_e32 v[76:77], s[14:15], v[110:111]
	;; [unrolled: 1-line block ×4, first 2 shown]
	v_add_f64_e32 v[8:9], v[8:9], v[40:41]
	v_add_f64_e64 v[2:3], v[16:17], -v[2:3]
	v_mul_f64_e32 v[16:17], s[18:19], v[216:217]
	v_mul_f64_e32 v[216:217], s[4:5], v[46:47]
	;; [unrolled: 1-line block ×3, first 2 shown]
	v_add_f64_e32 v[26:27], v[26:27], v[38:39]
	v_add_f64_e32 v[38:39], v[222:223], v[50:51]
	v_mul_f64_e32 v[50:51], s[14:15], v[42:43]
	v_add_f64_e32 v[10:11], v[10:11], v[44:45]
	v_add_f64_e64 v[70:71], v[74:75], -v[70:71]
	v_add_f64_e64 v[78:79], v[104:105], -v[78:79]
	v_mul_f64_e32 v[54:55], s[20:21], v[54:55]
	v_add_f64_e32 v[60:61], v[224:225], v[60:61]
	v_mul_f64_e32 v[224:225], s[18:19], v[226:227]
	v_mul_f64_e32 v[226:227], s[4:5], v[228:229]
	v_add_f64_e32 v[12:13], v[12:13], v[58:59]
	v_mul_f64_e32 v[222:223], s[14:15], v[52:53]
	v_mul_f64_e32 v[62:63], s[18:19], v[62:63]
	;; [unrolled: 1-line block ×4, first 2 shown]
	v_add_f64_e32 v[14:15], v[14:15], v[32:33]
	v_mul_f64_e32 v[238:239], s[14:15], v[34:35]
	v_add_f64_e32 v[68:69], v[68:69], v[74:75]
	v_mul_f64_e32 v[66:67], s[20:21], v[66:67]
	v_mul_f64_e32 v[74:75], s[4:5], v[72:73]
	;; [unrolled: 1-line block ×3, first 2 shown]
	v_add_f64_e32 v[18:19], v[18:19], v[106:107]
	v_mul_f64_e32 v[80:81], s[18:19], v[80:81]
	v_add_f64_e32 v[30:31], v[30:31], v[104:105]
	v_fma_f64 v[104:105], v[110:111], s[14:15], -v[56:57]
	v_fma_f64 v[56:57], v[36:37], s[22:23], v[56:57]
	v_fma_f64 v[36:37], v[36:37], s[24:25], -v[76:77]
	v_fma_f64 v[76:77], v[202:203], s[4:5], v[108:109]
	v_fma_f64 v[40:41], v[40:41], s[12:13], v[8:9]
	v_fma_f64 v[110:111], v[0:1], s[10:11], -v[120:121]
	v_fma_f64 v[0:1], v[0:1], s[16:17], -v[108:109]
	v_fma_f64 v[46:47], v[46:47], s[4:5], v[16:17]
	v_fma_f64 v[108:109], v[22:23], s[10:11], -v[216:217]
	v_fma_f64 v[120:121], v[48:49], s[22:23], v[218:219]
	v_fma_f64 v[16:17], v[22:23], s[16:17], -v[16:17]
	v_fma_f64 v[22:23], v[42:43], s[14:15], -v[218:219]
	;; [unrolled: 1-line block ×3, first 2 shown]
	v_fma_f64 v[44:45], v[44:45], s[12:13], v[10:11]
	v_fma_f64 v[48:49], v[28:29], s[22:23], v[54:55]
	v_fma_f64 v[50:51], v[52:53], s[14:15], -v[54:55]
	v_fma_f64 v[52:53], v[228:229], s[4:5], v[224:225]
	v_fma_f64 v[54:55], v[20:21], s[10:11], -v[226:227]
	;; [unrolled: 2-line block ×3, first 2 shown]
	v_fma_f64 v[20:21], v[20:21], s[16:17], -v[224:225]
	v_fma_f64 v[202:203], v[230:231], s[4:5], v[62:63]
	v_fma_f64 v[216:217], v[24:25], s[10:11], -v[236:237]
	v_fma_f64 v[218:219], v[70:71], s[22:23], v[232:233]
	v_fma_f64 v[24:25], v[24:25], s[16:17], -v[62:63]
	v_fma_f64 v[34:35], v[34:35], s[14:15], -v[232:233]
	v_fma_f64 v[32:33], v[32:33], s[12:13], v[14:15]
	v_fma_f64 v[70:71], v[70:71], s[24:25], -v[238:239]
	v_lshl_add_u32 v231, v5, 3, 0
	v_fma_f64 v[62:63], v[78:79], s[22:23], v[66:67]
	v_fma_f64 v[66:67], v[234:235], s[14:15], -v[66:67]
	v_fma_f64 v[222:223], v[2:3], s[10:11], -v[74:75]
	v_fma_f64 v[106:107], v[106:107], s[12:13], v[18:19]
	v_fma_f64 v[72:73], v[72:73], s[4:5], v[80:81]
	v_fma_f64 v[78:79], v[78:79], s[24:25], -v[240:241]
	v_fma_f64 v[2:3], v[2:3], s[16:17], -v[80:81]
	s_wait_alu 0xfffe
	v_fma_f64 v[56:57], v[26:27], s[26:27], v[56:57]
	v_fma_f64 v[104:105], v[26:27], s[26:27], v[104:105]
	;; [unrolled: 1-line block ×3, first 2 shown]
	v_add_f64_e32 v[36:37], v[76:77], v[40:41]
	v_add_f64_e32 v[110:111], v[110:111], v[40:41]
	;; [unrolled: 1-line block ×3, first 2 shown]
	v_add_nc_u32_e32 v240, 0xa8, v220
	v_add_nc_u32_e32 v241, 0xe0, v220
	v_fma_f64 v[120:121], v[38:39], s[26:27], v[120:121]
	ds_load_2addr_b64 v[74:77], v221 offset1:56
	v_fma_f64 v[22:23], v[38:39], s[26:27], v[22:23]
	v_fma_f64 v[38:39], v[38:39], s[26:27], v[42:43]
	v_add_f64_e32 v[40:41], v[108:109], v[44:45]
	v_add_f64_e32 v[16:17], v[16:17], v[44:45]
	;; [unrolled: 1-line block ×3, first 2 shown]
	v_fma_f64 v[42:43], v[60:61], s[26:27], v[48:49]
	v_fma_f64 v[48:49], v[60:61], s[26:27], v[50:51]
	v_add_f64_e32 v[46:47], v[52:53], v[58:59]
	v_fma_f64 v[28:29], v[60:61], s[26:27], v[28:29]
	v_add_f64_e32 v[20:21], v[20:21], v[58:59]
	v_add_f64_e32 v[50:51], v[54:55], v[58:59]
	v_fma_f64 v[52:53], v[68:69], s[26:27], v[218:219]
	v_lshrrev_b32_e32 v219, 2, v240
	v_fma_f64 v[34:35], v[68:69], s[26:27], v[34:35]
	v_add_f64_e32 v[54:55], v[216:217], v[32:33]
	v_add_f64_e32 v[24:25], v[24:25], v[32:33]
	;; [unrolled: 1-line block ×3, first 2 shown]
	v_fma_f64 v[58:59], v[68:69], s[26:27], v[70:71]
	v_fma_f64 v[60:61], v[30:31], s[26:27], v[62:63]
	;; [unrolled: 1-line block ×3, first 2 shown]
	v_lshrrev_b32_e32 v202, 2, v6
	v_add_f64_e32 v[66:67], v[222:223], v[106:107]
	v_add_f64_e32 v[68:69], v[72:73], v[106:107]
	v_fma_f64 v[30:31], v[30:31], s[26:27], v[78:79]
	v_add_f64_e32 v[2:3], v[2:3], v[106:107]
	v_lshrrev_b32_e32 v203, 2, v7
	v_lshrrev_b32_e32 v222, 2, v241
	ds_load_2addr_b64 v[78:81], v221 offset0:112 offset1:168
	v_add_f64_e32 v[70:71], v[56:57], v[36:37]
	v_add_f64_e64 v[72:73], v[110:111], -v[104:105]
	v_add_f64_e32 v[106:107], v[26:27], v[0:1]
	v_add_f64_e32 v[104:105], v[104:105], v[110:111]
	v_add_f64_e64 v[26:27], v[0:1], -v[26:27]
	v_add_f64_e64 v[36:37], v[36:37], -v[56:57]
	global_wb scope:SCOPE_SE
	s_wait_loadcnt_dscnt 0x0
	s_barrier_signal -1
	s_barrier_wait -1
	v_add_f64_e64 v[56:57], v[40:41], -v[22:23]
	v_add_f64_e32 v[22:23], v[22:23], v[40:41]
	v_add_f64_e32 v[40:41], v[38:39], v[16:17]
	v_add_f64_e64 v[16:17], v[16:17], -v[38:39]
	v_add_f64_e32 v[38:39], v[120:121], v[44:45]
	v_add_f64_e64 v[44:45], v[44:45], -v[120:121]
	v_add_f64_e32 v[108:109], v[42:43], v[46:47]
	v_add_f64_e32 v[110:111], v[28:29], v[20:21]
	v_add_f64_e64 v[120:121], v[50:51], -v[48:49]
	v_add_f64_e32 v[48:49], v[48:49], v[50:51]
	v_add_f64_e64 v[20:21], v[20:21], -v[28:29]
	v_add_f64_e64 v[28:29], v[46:47], -v[42:43]
	global_inv scope:SCOPE_SE
	v_add_nc_u32_e32 v216, 0xc00, v221
	v_add_nc_u32_e32 v217, 0x1400, v221
	v_add_f64_e64 v[42:43], v[54:55], -v[34:35]
	v_add_f64_e32 v[34:35], v[34:35], v[54:55]
	v_add_f64_e32 v[50:51], v[52:53], v[32:33]
	;; [unrolled: 1-line block ×3, first 2 shown]
	v_add_f64_e64 v[24:25], v[24:25], -v[58:59]
	v_add_f64_e64 v[32:33], v[32:33], -v[52:53]
	v_add_nc_u32_e32 v218, 0x3400, v221
	v_add_f64_e64 v[52:53], v[66:67], -v[62:63]
	v_add_f64_e32 v[58:59], v[60:61], v[68:69]
	v_add_f64_e32 v[54:55], v[62:63], v[66:67]
	;; [unrolled: 1-line block ×3, first 2 shown]
	v_add_f64_e64 v[2:3], v[2:3], -v[30:31]
	v_add_f64_e64 v[0:1], v[68:69], -v[60:61]
	v_mul_u32_u24_e32 v30, 28, v202
	v_mul_u32_u24_e32 v31, 28, v203
	;; [unrolled: 1-line block ×4, first 2 shown]
	s_delay_alu instid0(VALU_DEP_4) | instskip(NEXT) | instid1(VALU_DEP_4)
	v_or_b32_e32 v30, v30, v4
	v_or_b32_e32 v31, v31, v4
	s_delay_alu instid0(VALU_DEP_4) | instskip(NEXT) | instid1(VALU_DEP_4)
	v_or_b32_e32 v60, v60, v4
	v_or_b32_e32 v4, v61, v4
	s_delay_alu instid0(VALU_DEP_4) | instskip(NEXT) | instid1(VALU_DEP_4)
	v_lshl_add_u32 v232, v30, 3, 0
	v_lshl_add_u32 v230, v31, 3, 0
	s_delay_alu instid0(VALU_DEP_4) | instskip(NEXT) | instid1(VALU_DEP_4)
	v_lshl_add_u32 v219, v60, 3, 0
	v_lshl_add_u32 v229, v4, 3, 0
	ds_store_2addr_b64 v231, v[8:9], v[70:71] offset1:4
	ds_store_2addr_b64 v231, v[106:107], v[72:73] offset0:8 offset1:12
	ds_store_2addr_b64 v231, v[104:105], v[26:27] offset0:16 offset1:20
	ds_store_b64 v231, v[36:37] offset:192
	ds_store_2addr_b64 v232, v[10:11], v[38:39] offset1:4
	ds_store_2addr_b64 v232, v[40:41], v[56:57] offset0:8 offset1:12
	ds_store_2addr_b64 v232, v[22:23], v[16:17] offset0:16 offset1:20
	ds_store_b64 v232, v[44:45] offset:192
	;; [unrolled: 4-line block ×5, first 2 shown]
	v_add_nc_u32_e32 v2, 0x1c00, v221
	global_wb scope:SCOPE_SE
	s_wait_dscnt 0x0
	s_barrier_signal -1
	s_barrier_wait -1
	global_inv scope:SCOPE_SE
	ds_load_2addr_b64 v[36:39], v2 offset0:84 offset1:140
	v_add_nc_u32_e32 v3, 0x2000, v221
	v_add_nc_u32_e32 v2, 0x400, v221
	ds_load_2addr_b64 v[32:35], v3 offset0:68 offset1:124
	ds_load_2addr_b64 v[60:63], v2 offset0:96 offset1:152
	;; [unrolled: 1-line block ×7, first 2 shown]
	v_lshl_add_u32 v6, v204, 3, 0
	v_add_nc_u32_e32 v2, 0x1800, v221
	scratch_store_b32 off, v6, off offset:32 ; 4-byte Folded Spill
	ds_load_b64 v[214:215], v6
	ds_load_b64 v[4:5], v221 offset:15008
	ds_load_2addr_b64 v[20:23], v207 offset0:4 offset1:60
	ds_load_2addr_b64 v[8:11], v207 offset0:116 offset1:172
	ds_load_2addr_b64 v[40:43], v2 offset0:72 offset1:128
	ds_load_2addr_b64 v[70:73], v221 offset1:56
	ds_load_2addr_b64 v[66:69], v221 offset0:112 offset1:168
	ds_load_2addr_b64 v[52:55], v216 offset0:120 offset1:176
	;; [unrolled: 1-line block ×4, first 2 shown]
	s_and_saveexec_b32 s1, s0
	s_cbranch_execz .LBB0_21
; %bb.20:
	ds_load_b64 v[0:1], v221 offset:7616
	ds_load_b64 v[2:3], v221 offset:15456
	s_wait_dscnt 0x0
	scratch_store_b128 off, v[0:3], off offset:16 ; 16-byte Folded Spill
.LBB0_21:
	s_wait_alu 0xfffe
	s_or_b32 exec_lo, exec_lo, s1
	v_add_f64_e32 v[2:3], v[146:147], v[200:201]
	v_add_f64_e32 v[104:105], v[148:149], v[152:153]
	;; [unrolled: 1-line block ×11, first 2 shown]
	v_add_f64_e64 v[102:103], v[124:125], -v[102:103]
	v_add_f64_e64 v[124:125], v[160:161], -v[250:251]
	v_add_f64_e64 v[96:97], v[140:141], -v[96:97]
	v_add_f64_e32 v[132:133], v[164:165], v[172:173]
	v_add_f64_e64 v[100:101], v[100:101], -v[126:127]
	v_add_f64_e64 v[126:127], v[166:167], -v[156:157]
	v_add_f64_e64 v[98:99], v[248:249], -v[98:99]
	v_add_f64_e32 v[142:143], v[158:159], v[174:175]
	;; [unrolled: 4-line block ×3, first 2 shown]
	v_add_f64_e64 v[84:85], v[84:85], -v[130:131]
	v_add_f64_e64 v[88:89], v[178:179], -v[88:89]
	;; [unrolled: 1-line block ×4, first 2 shown]
	v_add_f64_e32 v[90:91], v[90:91], v[186:187]
	v_add_f64_e64 v[114:115], v[176:177], -v[114:115]
	v_add_f64_e64 v[146:147], v[242:243], -v[150:151]
	global_wb scope:SCOPE_SE
	s_wait_storecnt_dscnt 0x0
	s_barrier_signal -1
	s_barrier_wait -1
	global_inv scope:SCOPE_SE
	v_add_f64_e32 v[140:141], v[104:105], v[2:3]
	v_add_f64_e32 v[144:145], v[108:109], v[106:107]
	;; [unrolled: 1-line block ×5, first 2 shown]
	v_add_f64_e64 v[150:151], v[2:3], -v[118:119]
	v_add_f64_e64 v[152:153], v[118:119], -v[104:105]
	;; [unrolled: 1-line block ×9, first 2 shown]
	v_add_f64_e32 v[102:103], v[124:125], v[102:103]
	v_add_f64_e64 v[166:167], v[92:93], -v[86:87]
	v_add_f64_e64 v[168:169], v[86:87], -v[94:95]
	v_add_f64_e64 v[170:171], v[116:117], -v[136:137]
	v_add_f64_e64 v[124:125], v[96:97], -v[124:125]
	v_add_f64_e64 v[172:173], v[88:89], -v[84:85]
	v_add_f64_e64 v[104:105], v[84:85], -v[82:83]
	v_add_f64_e32 v[86:87], v[92:93], v[86:87]
	v_add_f64_e32 v[84:85], v[88:89], v[84:85]
	v_add_f64_e64 v[174:175], v[114:115], -v[128:129]
	v_add_f64_e64 v[176:177], v[128:129], -v[146:147]
	v_add_f64_e32 v[128:129], v[114:115], v[128:129]
	v_add_f64_e64 v[106:107], v[108:109], -v[106:107]
	v_add_f64_e64 v[110:111], v[120:121], -v[110:111]
	;; [unrolled: 1-line block ×5, first 2 shown]
	v_add_f64_e32 v[118:119], v[118:119], v[140:141]
	v_add_f64_e64 v[140:141], v[126:127], -v[100:101]
	v_add_f64_e32 v[132:133], v[132:133], v[144:145]
	v_add_f64_e64 v[144:145], v[142:143], -v[120:121]
	;; [unrolled: 2-line block ×4, first 2 shown]
	v_add_f64_e32 v[148:149], v[90:91], v[148:149]
	v_add_f64_e32 v[100:101], v[126:127], v[100:101]
	v_add_f64_e64 v[90:91], v[90:91], -v[138:139]
	v_mul_f64_e32 v[150:151], s[18:19], v[150:151]
	v_mul_f64_e32 v[108:109], s[20:21], v[154:155]
	;; [unrolled: 1-line block ×4, first 2 shown]
	v_add_f64_e64 v[126:127], v[98:99], -v[126:127]
	v_mul_f64_e32 v[158:159], s[18:19], v[158:159]
	v_mul_f64_e32 v[180:181], s[4:5], v[160:161]
	;; [unrolled: 1-line block ×3, first 2 shown]
	v_add_f64_e64 v[134:135], v[136:137], -v[134:135]
	v_mul_f64_e32 v[136:137], s[20:21], v[166:167]
	v_mul_f64_e32 v[166:167], s[14:15], v[168:169]
	v_add_f64_e64 v[122:123], v[138:139], -v[122:123]
	v_mul_f64_e32 v[172:173], s[20:21], v[172:173]
	v_mul_f64_e32 v[138:139], s[14:15], v[104:105]
	;; [unrolled: 1-line block ×3, first 2 shown]
	v_add_f64_e32 v[96:97], v[102:103], v[96:97]
	v_mul_f64_e32 v[174:175], s[20:21], v[174:175]
	v_mul_f64_e32 v[102:103], s[14:15], v[176:177]
	v_add_f64_e32 v[86:87], v[86:87], v[94:95]
	v_add_f64_e32 v[82:83], v[84:85], v[82:83]
	;; [unrolled: 1-line block ×4, first 2 shown]
	v_mul_f64_e32 v[120:121], s[20:21], v[140:141]
	v_add_f64_e32 v[76:77], v[76:77], v[132:133]
	v_mul_f64_e32 v[140:141], s[14:15], v[162:163]
	v_add_f64_e32 v[78:79], v[78:79], v[112:113]
	v_mul_f64_e32 v[182:183], s[4:5], v[144:145]
	v_mul_f64_e32 v[142:143], s[18:19], v[142:143]
	v_add_f64_e32 v[80:81], v[80:81], v[116:117]
	v_mul_f64_e32 v[130:131], s[18:19], v[130:131]
	v_add_f64_e32 v[186:187], v[64:65], v[148:149]
	v_add_f64_e32 v[64:65], v[100:101], v[98:99]
	v_mul_f64_e32 v[98:99], s[4:5], v[90:91]
	v_fma_f64 v[94:95], v[152:153], s[4:5], v[150:151]
	v_fma_f64 v[128:129], v[124:125], s[22:23], v[108:109]
	v_fma_f64 v[100:101], v[2:3], s[10:11], -v[178:179]
	v_fma_f64 v[2:3], v[2:3], s[16:17], -v[150:151]
	;; [unrolled: 1-line block ×4, first 2 shown]
	v_fma_f64 v[146:147], v[160:161], s[4:5], v[158:159]
	v_fma_f64 v[150:151], v[106:107], s[10:11], -v[180:181]
	v_fma_f64 v[106:107], v[106:107], s[16:17], -v[158:159]
	v_fma_f64 v[154:155], v[92:93], s[22:23], v[136:137]
	v_fma_f64 v[136:137], v[168:169], s[14:15], -v[136:137]
	v_fma_f64 v[92:93], v[92:93], s[24:25], -v[166:167]
	;; [unrolled: 3-line block ×3, first 2 shown]
	v_fma_f64 v[158:159], v[134:135], s[10:11], -v[184:185]
	v_fma_f64 v[138:139], v[114:115], s[22:23], v[174:175]
	v_fma_f64 v[102:103], v[114:115], s[24:25], -v[102:103]
	v_fma_f64 v[118:119], v[118:119], s[12:13], v[74:75]
	v_fma_f64 v[152:153], v[126:127], s[22:23], v[120:121]
	;; [unrolled: 1-line block ×3, first 2 shown]
	v_fma_f64 v[120:121], v[162:163], s[14:15], -v[120:121]
	v_fma_f64 v[126:127], v[126:127], s[24:25], -v[140:141]
	v_fma_f64 v[140:141], v[144:145], s[4:5], v[164:165]
	v_fma_f64 v[112:113], v[112:113], s[12:13], v[78:79]
	v_fma_f64 v[144:145], v[110:111], s[10:11], -v[182:183]
	v_fma_f64 v[110:111], v[110:111], s[16:17], -v[164:165]
	v_fma_f64 v[156:157], v[170:171], s[4:5], v[142:143]
	v_fma_f64 v[116:117], v[116:117], s[12:13], v[80:81]
	v_fma_f64 v[134:135], v[134:135], s[16:17], -v[142:143]
	v_fma_f64 v[90:91], v[90:91], s[4:5], v[130:131]
	v_fma_f64 v[114:115], v[148:149], s[12:13], v[186:187]
	v_fma_f64 v[142:143], v[176:177], s[14:15], -v[174:175]
	v_fma_f64 v[130:131], v[122:123], s[16:17], -v[130:131]
	v_fma_f64 v[98:99], v[122:123], s[10:11], -v[98:99]
	v_fma_f64 v[122:123], v[96:97], s[26:27], v[128:129]
	v_fma_f64 v[108:109], v[96:97], s[26:27], v[108:109]
	;; [unrolled: 1-line block ×6, first 2 shown]
	v_add_f64_e32 v[94:95], v[94:95], v[118:119]
	v_add_f64_e32 v[2:3], v[2:3], v[118:119]
	;; [unrolled: 1-line block ×3, first 2 shown]
	v_fma_f64 v[118:119], v[64:65], s[26:27], v[152:153]
	v_add_f64_e32 v[124:125], v[146:147], v[132:133]
	v_fma_f64 v[120:121], v[64:65], s[26:27], v[120:121]
	v_fma_f64 v[64:65], v[64:65], s[26:27], v[126:127]
	v_add_f64_e32 v[106:107], v[106:107], v[132:133]
	v_add_f64_e32 v[126:127], v[150:151], v[132:133]
	v_fma_f64 v[132:133], v[86:87], s[26:27], v[136:137]
	v_fma_f64 v[86:87], v[86:87], s[26:27], v[92:93]
	v_add_f64_e32 v[92:93], v[140:141], v[112:113]
	v_add_f64_e32 v[110:111], v[110:111], v[112:113]
	;; [unrolled: 1-line block ×3, first 2 shown]
	v_fma_f64 v[136:137], v[82:83], s[26:27], v[160:161]
	v_fma_f64 v[82:83], v[82:83], s[26:27], v[88:89]
	v_add_f64_e32 v[88:89], v[156:157], v[116:117]
	v_add_f64_e32 v[134:135], v[134:135], v[116:117]
	;; [unrolled: 1-line block ×4, first 2 shown]
	v_fma_f64 v[140:141], v[84:85], s[26:27], v[142:143]
	v_fma_f64 v[84:85], v[84:85], s[26:27], v[102:103]
	v_add_f64_e32 v[102:103], v[130:131], v[114:115]
	v_add_f64_e32 v[98:99], v[98:99], v[114:115]
	v_add_f64_e64 v[114:115], v[94:95], -v[122:123]
	v_add_f64_e64 v[130:131], v[2:3], -v[96:97]
	v_add_f64_e32 v[142:143], v[108:109], v[100:101]
	v_add_f64_e64 v[100:101], v[100:101], -v[108:109]
	v_add_f64_e32 v[2:3], v[96:97], v[2:3]
	v_add_f64_e32 v[94:95], v[122:123], v[94:95]
	v_add_f64_e64 v[96:97], v[124:125], -v[118:119]
	v_add_f64_e64 v[108:109], v[106:107], -v[64:65]
	v_add_f64_e32 v[122:123], v[120:121], v[126:127]
	v_add_f64_e64 v[120:121], v[126:127], -v[120:121]
	;; [unrolled: 6-line block ×5, first 2 shown]
	v_add_f64_e32 v[84:85], v[84:85], v[102:103]
	v_add_f64_e32 v[64:65], v[138:139], v[90:91]
	v_add_nc_u32_e32 v90, 0x1c00, v221
	v_add_nc_u32_e32 v91, 0x2000, v221
	;; [unrolled: 1-line block ×8, first 2 shown]
	ds_store_2addr_b64 v231, v[74:75], v[114:115] offset1:4
	ds_store_2addr_b64 v231, v[130:131], v[142:143] offset0:8 offset1:12
	ds_store_2addr_b64 v231, v[100:101], v[2:3] offset0:16 offset1:20
	ds_store_b64 v231, v[94:95] offset:192
	ds_store_2addr_b64 v232, v[76:77], v[96:97] offset1:4
	ds_store_2addr_b64 v232, v[108:109], v[122:123] offset0:8 offset1:12
	ds_store_2addr_b64 v232, v[120:121], v[106:107] offset0:16 offset1:20
	ds_store_b64 v232, v[118:119] offset:192
	;; [unrolled: 4-line block ×5, first 2 shown]
	global_wb scope:SCOPE_SE
	s_wait_dscnt 0x0
	s_barrier_signal -1
	s_barrier_wait -1
	global_inv scope:SCOPE_SE
	ds_load_2addr_b64 v[74:77], v221 offset1:56
	ds_load_2addr_b64 v[122:125], v90 offset0:84 offset1:140
	ds_load_2addr_b64 v[78:81], v221 offset0:112 offset1:168
	;; [unrolled: 1-line block ×15, first 2 shown]
	v_lshl_add_u32 v2, v204, 3, 0
	ds_load_b64 v[216:217], v2
	ds_load_b64 v[218:219], v221 offset:15008
	s_and_saveexec_b32 s1, s0
	s_cbranch_execz .LBB0_23
; %bb.22:
	ds_load_b64 v[64:65], v221 offset:7616
	ds_load_b64 v[2:3], v221 offset:15456
	s_wait_dscnt 0x0
	scratch_store_b128 off, v[0:3], off     ; 16-byte Folded Spill
.LBB0_23:
	s_wait_alu 0xfffe
	s_or_b32 exec_lo, exec_lo, s1
	v_subrev_nc_u32_e32 v2, 28, v220
	v_dual_mov_b32 v141, 0 :: v_dual_add_nc_u32 v6, 56, v220
	v_add_nc_u32_e32 v162, 0x150, v220
	v_add_nc_u32_e32 v161, 0x118, v220
	s_delay_alu instid0(VALU_DEP_4) | instskip(SKIP_2) | instid1(VALU_DEP_4)
	v_cndmask_b32_e64 v140, v2, v220, s0
	v_lshrrev_b16 v142, 2, v240
	v_lshrrev_b16 v143, 2, v241
	;; [unrolled: 1-line block ×3, first 2 shown]
	s_delay_alu instid0(VALU_DEP_4) | instskip(NEXT) | instid1(VALU_DEP_4)
	v_lshlrev_b64_e32 v[2:3], 4, v[140:141]
	v_and_b32_e32 v142, 63, v142
	s_delay_alu instid0(VALU_DEP_4) | instskip(NEXT) | instid1(VALU_DEP_4)
	v_and_b32_e32 v143, 0xffff, v143
	v_and_b32_e32 v144, 0xffff, v144
	s_delay_alu instid0(VALU_DEP_3)
	v_mul_lo_u16 v142, v142, 37
	v_add_co_u32 v138, s1, s8, v2
	s_wait_alu 0xf1ff
	v_add_co_ci_u32_e64 v139, s1, s9, v3, s1
	v_add_nc_u32_e32 v3, 0x188, v220
	v_cmp_lt_u32_e64 s1, 27, v220
	v_mul_u32_u24_e32 v143, 0x4925, v143
	v_mul_u32_u24_e32 v144, 0x4925, v144
	v_lshrrev_b16 v225, 8, v142
	v_lshrrev_b16 v2, 2, v3
	s_delay_alu instid0(VALU_DEP_4) | instskip(NEXT) | instid1(VALU_DEP_4)
	v_lshrrev_b32_e32 v226, 17, v143
	v_lshrrev_b32_e32 v227, 17, v144
	s_delay_alu instid0(VALU_DEP_3) | instskip(NEXT) | instid1(VALU_DEP_2)
	v_and_b32_e32 v2, 0xffff, v2
	v_mul_lo_u16 v160, v227, 28
	s_delay_alu instid0(VALU_DEP_2) | instskip(NEXT) | instid1(VALU_DEP_2)
	v_mul_u32_u24_e32 v2, 0x4925, v2
	v_sub_nc_u16 v160, v161, v160
	s_delay_alu instid0(VALU_DEP_2) | instskip(NEXT) | instid1(VALU_DEP_2)
	v_lshrrev_b32_e32 v230, 17, v2
	v_and_b32_e32 v243, 0xffff, v160
	s_delay_alu instid0(VALU_DEP_2) | instskip(NEXT) | instid1(VALU_DEP_1)
	v_mul_lo_u16 v2, v230, 28
	v_sub_nc_u16 v141, v3, v2
	v_add_nc_u16 v2, v220, 0x1f8
	s_delay_alu instid0(VALU_DEP_2) | instskip(NEXT) | instid1(VALU_DEP_2)
	v_and_b32_e32 v245, 0xffff, v141
	v_lshrrev_b16 v3, 2, v2
	v_lshlrev_b32_e32 v141, 4, v243
	s_delay_alu instid0(VALU_DEP_3) | instskip(NEXT) | instid1(VALU_DEP_3)
	v_lshlrev_b32_e32 v170, 4, v245
	v_and_b32_e32 v3, 0xffff, v3
	s_delay_alu instid0(VALU_DEP_1) | instskip(NEXT) | instid1(VALU_DEP_1)
	v_mul_u32_u24_e32 v3, 0x4925, v3
	v_lshrrev_b32_e32 v232, 17, v3
	s_delay_alu instid0(VALU_DEP_1) | instskip(NEXT) | instid1(VALU_DEP_1)
	v_mul_lo_u16 v3, v232, 28
	v_sub_nc_u16 v150, v2, v3
	v_add_nc_u16 v2, v220, 0x230
	s_delay_alu instid0(VALU_DEP_2) | instskip(NEXT) | instid1(VALU_DEP_2)
	v_and_b32_e32 v247, 0xffff, v150
	v_lshrrev_b16 v3, 2, v2
	s_delay_alu instid0(VALU_DEP_2) | instskip(NEXT) | instid1(VALU_DEP_2)
	v_lshlrev_b32_e32 v178, 4, v247
	v_and_b32_e32 v3, 0xffff, v3
	s_delay_alu instid0(VALU_DEP_1) | instskip(NEXT) | instid1(VALU_DEP_1)
	v_mul_u32_u24_e32 v3, 0x4925, v3
	v_lshrrev_b32_e32 v229, 17, v3
	s_delay_alu instid0(VALU_DEP_1) | instskip(NEXT) | instid1(VALU_DEP_1)
	v_mul_lo_u16 v3, v229, 28
	v_sub_nc_u16 v151, v2, v3
	v_add_nc_u16 v2, v220, 0x268
	s_delay_alu instid0(VALU_DEP_2) | instskip(NEXT) | instid1(VALU_DEP_2)
	v_and_b32_e32 v248, 0xffff, v151
	v_lshrrev_b16 v3, 2, v2
	s_delay_alu instid0(VALU_DEP_2) | instskip(NEXT) | instid1(VALU_DEP_2)
	;; [unrolled: 13-line block ×6, first 2 shown]
	v_lshlrev_b32_e32 v198, 4, v252
	v_and_b32_e32 v3, 0xffff, v3
	s_delay_alu instid0(VALU_DEP_1) | instskip(NEXT) | instid1(VALU_DEP_1)
	v_mul_u32_u24_e32 v3, 0x4925, v3
	v_lshrrev_b32_e32 v237, 17, v3
	s_delay_alu instid0(VALU_DEP_1) | instskip(NEXT) | instid1(VALU_DEP_1)
	v_mul_lo_u16 v3, v237, 28
	v_sub_nc_u16 v156, v2, v3
	v_or_b32_e32 v2, 0x380, v220
	s_delay_alu instid0(VALU_DEP_2) | instskip(NEXT) | instid1(VALU_DEP_2)
	v_and_b32_e32 v253, 0xffff, v156
	v_lshrrev_b16 v3, 2, v2
	s_delay_alu instid0(VALU_DEP_2) | instskip(NEXT) | instid1(VALU_DEP_2)
	v_lshlrev_b32_e32 v202, 4, v253
	v_and_b32_e32 v3, 0xffff, v3
	s_delay_alu instid0(VALU_DEP_1) | instskip(NEXT) | instid1(VALU_DEP_1)
	v_mul_u32_u24_e32 v3, 0x4925, v3
	v_lshrrev_b32_e32 v235, 17, v3
	s_delay_alu instid0(VALU_DEP_1) | instskip(NEXT) | instid1(VALU_DEP_1)
	v_mul_lo_u16 v3, v235, 28
	v_sub_nc_u16 v157, v2, v3
	v_lshrrev_b16 v2, 2, v204
	v_add_nc_u16 v3, v220, 0x3b8
	s_delay_alu instid0(VALU_DEP_3) | instskip(NEXT) | instid1(VALU_DEP_3)
	v_and_b32_e32 v254, 0xffff, v157
	v_and_b32_e32 v2, 0xffff, v2
	s_delay_alu instid0(VALU_DEP_2) | instskip(NEXT) | instid1(VALU_DEP_2)
	v_lshlrev_b32_e32 v206, 4, v254
	v_mul_u32_u24_e32 v2, 0x4925, v2
	s_delay_alu instid0(VALU_DEP_1) | instskip(NEXT) | instid1(VALU_DEP_1)
	v_lshrrev_b32_e32 v222, 17, v2
	v_mul_lo_u16 v2, v222, 28
	s_delay_alu instid0(VALU_DEP_1) | instskip(SKIP_2) | instid1(VALU_DEP_3)
	v_sub_nc_u16 v158, v204, v2
	v_lshlrev_b32_e32 v2, 3, v140
	v_lshrrev_b16 v140, 2, v3
	v_and_b32_e32 v246, 0xffff, v158
	s_delay_alu instid0(VALU_DEP_2) | instskip(NEXT) | instid1(VALU_DEP_2)
	v_and_b32_e32 v140, 0xffff, v140
	v_lshlrev_b32_e32 v174, 4, v246
	s_delay_alu instid0(VALU_DEP_2) | instskip(NEXT) | instid1(VALU_DEP_1)
	v_mul_u32_u24_e32 v140, 0x4925, v140
	v_lshrrev_b32_e32 v140, 17, v140
	s_delay_alu instid0(VALU_DEP_1) | instskip(NEXT) | instid1(VALU_DEP_1)
	v_mul_lo_u16 v140, v140, 28
	v_sub_nc_u16 v140, v3, v140
	s_wait_alu 0xf1ff
	v_cndmask_b32_e64 v3, 0, 0x1c0, s1
	s_delay_alu instid0(VALU_DEP_2) | instskip(NEXT) | instid1(VALU_DEP_2)
	v_and_b32_e32 v255, 0xffff, v140
	v_add3_u32 v233, 0, v3, v2
	v_lshrrev_b16 v2, 2, v6
	v_lshrrev_b16 v3, 2, v7
	s_delay_alu instid0(VALU_DEP_2) | instskip(NEXT) | instid1(VALU_DEP_2)
	v_and_b32_e32 v2, 63, v2
	v_and_b32_e32 v3, 63, v3
	s_delay_alu instid0(VALU_DEP_2) | instskip(NEXT) | instid1(VALU_DEP_2)
	v_mul_lo_u16 v2, v2, 37
	v_mul_lo_u16 v3, v3, 37
	s_delay_alu instid0(VALU_DEP_2) | instskip(NEXT) | instid1(VALU_DEP_2)
	v_lshrrev_b16 v223, 8, v2
	v_lshrrev_b16 v224, 8, v3
	;; [unrolled: 1-line block ×3, first 2 shown]
	s_delay_alu instid0(VALU_DEP_3) | instskip(NEXT) | instid1(VALU_DEP_2)
	v_mul_lo_u16 v3, v223, 28
	v_and_b32_e32 v2, 0xffff, v2
	s_delay_alu instid0(VALU_DEP_2) | instskip(SKIP_1) | instid1(VALU_DEP_3)
	v_sub_nc_u16 v3, v6, v3
	v_lshlrev_b32_e32 v6, 4, v255
	v_mul_u32_u24_e32 v2, 0x4925, v2
	s_delay_alu instid0(VALU_DEP_3) | instskip(SKIP_1) | instid1(VALU_DEP_3)
	v_and_b32_e32 v228, 0xff, v3
	v_mul_lo_u16 v3, v224, 28
	v_lshrrev_b32_e32 v239, 17, v2
	s_delay_alu instid0(VALU_DEP_3)
	v_lshlrev_b32_e32 v2, 4, v228
	s_clause 0x1
	global_load_b128 v[142:145], v[138:139], off offset:384
	global_load_b128 v[146:149], v2, s[8:9] offset:384
	v_mul_lo_u16 v138, v225, 28
	v_mul_lo_u16 v139, v226, 28
	;; [unrolled: 1-line block ×3, first 2 shown]
	v_sub_nc_u16 v159, v7, v3
	v_lshlrev_b32_e32 v7, 3, v228
	v_sub_nc_u16 v138, v240, v138
	v_sub_nc_u16 v139, v241, v139
	v_sub_nc_u16 v161, v162, v161
	v_and_b32_e32 v240, 0xff, v159
	s_delay_alu instid0(VALU_DEP_4) | instskip(NEXT) | instid1(VALU_DEP_4)
	v_and_b32_e32 v241, 0xff, v138
	v_and_b32_e32 v242, 0xffff, v139
	s_delay_alu instid0(VALU_DEP_4) | instskip(NEXT) | instid1(VALU_DEP_4)
	v_and_b32_e32 v244, 0xffff, v161
	v_lshlrev_b32_e32 v138, 4, v240
	s_delay_alu instid0(VALU_DEP_4) | instskip(NEXT) | instid1(VALU_DEP_4)
	v_lshlrev_b32_e32 v139, 4, v241
	v_lshlrev_b32_e32 v140, 4, v242
	s_delay_alu instid0(VALU_DEP_4)
	v_lshlrev_b32_e32 v166, 4, v244
	s_clause 0xf
	global_load_b128 v[150:153], v138, s[8:9] offset:384
	global_load_b128 v[154:157], v139, s[8:9] offset:384
	;; [unrolled: 1-line block ×16, first 2 shown]
	global_wb scope:SCOPE_SE
	s_wait_storecnt 0x0
	s_wait_loadcnt_dscnt 0x0
	s_barrier_signal -1
	s_barrier_wait -1
	global_inv scope:SCOPE_SE
	v_and_b32_e32 v6, 0xffff, v223
	s_delay_alu instid0(VALU_DEP_1) | instskip(SKIP_1) | instid1(VALU_DEP_1)
	v_mul_u32_u24_e32 v6, 0x1c0, v6
	v_mul_f64_e32 v[2:3], v[122:123], v[144:145]
	v_fma_f64 v[2:3], v[36:37], v[142:143], v[2:3]
	s_delay_alu instid0(VALU_DEP_1) | instskip(NEXT) | instid1(VALU_DEP_1)
	v_add_f64_e64 v[2:3], v[70:71], -v[2:3]
	v_fma_f64 v[70:71], v[70:71], 2.0, -v[2:3]
	ds_store_2addr_b64 v233, v[70:71], v[2:3] offset1:28
	v_mul_f64_e32 v[2:3], v[124:125], v[148:149]
	v_add3_u32 v70, 0, v6, v7
	v_and_b32_e32 v6, 0xffff, v225
	v_lshlrev_b32_e32 v7, 3, v241
	s_delay_alu instid0(VALU_DEP_2) | instskip(SKIP_1) | instid1(VALU_DEP_1)
	v_mul_u32_u24_e32 v6, 0x1c0, v6
	v_fma_f64 v[2:3], v[38:39], v[146:147], v[2:3]
	v_add_f64_e64 v[2:3], v[72:73], -v[2:3]
	s_delay_alu instid0(VALU_DEP_1) | instskip(SKIP_3) | instid1(VALU_DEP_2)
	v_fma_f64 v[71:72], v[72:73], 2.0, -v[2:3]
	ds_store_2addr_b64 v70, v[71:72], v[2:3] offset1:28
	v_and_b32_e32 v2, 0xffff, v224
	v_lshlrev_b32_e32 v3, 3, v240
	v_mul_u32_u24_e32 v2, 0x1c0, v2
	s_delay_alu instid0(VALU_DEP_1) | instskip(SKIP_1) | instid1(VALU_DEP_1)
	v_add3_u32 v71, 0, v2, v3
	v_mul_f64_e32 v[2:3], v[126:127], v[152:153]
	v_fma_f64 v[2:3], v[32:33], v[150:151], v[2:3]
	s_delay_alu instid0(VALU_DEP_1) | instskip(NEXT) | instid1(VALU_DEP_1)
	v_add_f64_e64 v[2:3], v[66:67], -v[2:3]
	v_fma_f64 v[66:67], v[66:67], 2.0, -v[2:3]
	ds_store_2addr_b64 v71, v[66:67], v[2:3] offset1:28
	v_mul_f64_e32 v[2:3], v[128:129], v[156:157]
	v_add3_u32 v66, 0, v6, v7
	v_mul_u32_u24_e32 v6, 0x1c0, v227
	v_lshlrev_b32_e32 v7, 3, v243
	s_delay_alu instid0(VALU_DEP_4) | instskip(NEXT) | instid1(VALU_DEP_1)
	v_fma_f64 v[2:3], v[34:35], v[154:155], v[2:3]
	v_add_f64_e64 v[2:3], v[68:69], -v[2:3]
	s_delay_alu instid0(VALU_DEP_1) | instskip(SKIP_3) | instid1(VALU_DEP_1)
	v_fma_f64 v[67:68], v[68:69], 2.0, -v[2:3]
	ds_store_2addr_b64 v66, v[67:68], v[2:3] offset1:28
	v_mul_u32_u24_e32 v2, 0x1c0, v226
	v_lshlrev_b32_e32 v3, 3, v242
	v_add3_u32 v67, 0, v2, v3
	v_mul_f64_e32 v[2:3], v[130:131], v[160:161]
	s_delay_alu instid0(VALU_DEP_1) | instskip(NEXT) | instid1(VALU_DEP_1)
	v_fma_f64 v[2:3], v[28:29], v[158:159], v[2:3]
	v_add_f64_e64 v[2:3], v[60:61], -v[2:3]
	s_delay_alu instid0(VALU_DEP_1)
	v_fma_f64 v[60:61], v[60:61], 2.0, -v[2:3]
	ds_store_2addr_b64 v67, v[60:61], v[2:3] offset1:28
	v_mul_f64_e32 v[2:3], v[132:133], v[164:165]
	v_add3_u32 v60, 0, v6, v7
	v_mul_u32_u24_e32 v6, 0x1c0, v230
	v_lshlrev_b32_e32 v7, 3, v245
	s_delay_alu instid0(VALU_DEP_4) | instskip(NEXT) | instid1(VALU_DEP_1)
	v_fma_f64 v[2:3], v[30:31], v[162:163], v[2:3]
	v_add_f64_e64 v[2:3], v[62:63], -v[2:3]
	s_delay_alu instid0(VALU_DEP_1) | instskip(SKIP_3) | instid1(VALU_DEP_1)
	v_fma_f64 v[61:62], v[62:63], 2.0, -v[2:3]
	ds_store_2addr_b64 v60, v[61:62], v[2:3] offset1:28
	v_mul_u32_u24_e32 v2, 0x1c0, v239
	v_lshlrev_b32_e32 v3, 3, v244
	v_add3_u32 v61, 0, v2, v3
	v_mul_f64_e32 v[2:3], v[134:135], v[168:169]
	s_delay_alu instid0(VALU_DEP_1) | instskip(NEXT) | instid1(VALU_DEP_1)
	v_fma_f64 v[2:3], v[24:25], v[166:167], v[2:3]
	v_add_f64_e64 v[2:3], v[56:57], -v[2:3]
	s_delay_alu instid0(VALU_DEP_1)
	v_fma_f64 v[56:57], v[56:57], 2.0, -v[2:3]
	ds_store_2addr_b64 v61, v[56:57], v[2:3] offset1:28
	v_mul_f64_e32 v[2:3], v[136:137], v[172:173]
	v_add3_u32 v56, 0, v6, v7
	v_mul_u32_u24_e32 v6, 0x1c0, v229
	v_lshlrev_b32_e32 v7, 3, v248
	s_delay_alu instid0(VALU_DEP_4) | instskip(NEXT) | instid1(VALU_DEP_1)
	v_fma_f64 v[2:3], v[26:27], v[170:171], v[2:3]
	v_add_f64_e64 v[2:3], v[58:59], -v[2:3]
	s_delay_alu instid0(VALU_DEP_1) | instskip(SKIP_3) | instid1(VALU_DEP_1)
	v_fma_f64 v[57:58], v[58:59], 2.0, -v[2:3]
	ds_store_2addr_b64 v56, v[57:58], v[2:3] offset1:28
	v_mul_u32_u24_e32 v2, 0x1c0, v222
	v_lshlrev_b32_e32 v3, 3, v246
	v_add3_u32 v57, 0, v2, v3
	v_mul_f64_e32 v[2:3], v[106:107], v[176:177]
	s_delay_alu instid0(VALU_DEP_1) | instskip(NEXT) | instid1(VALU_DEP_1)
	v_fma_f64 v[2:3], v[16:17], v[174:175], v[2:3]
	v_add_f64_e64 v[2:3], v[214:215], -v[2:3]
	s_delay_alu instid0(VALU_DEP_1) | instskip(SKIP_3) | instid1(VALU_DEP_1)
	v_fma_f64 v[58:59], v[214:215], 2.0, -v[2:3]
	ds_store_2addr_b64 v57, v[58:59], v[2:3] offset1:28
	v_mul_u32_u24_e32 v2, 0x1c0, v232
	v_lshlrev_b32_e32 v3, 3, v247
	v_add3_u32 v58, 0, v2, v3
	v_mul_f64_e32 v[2:3], v[108:109], v[180:181]
	s_delay_alu instid0(VALU_DEP_1) | instskip(NEXT) | instid1(VALU_DEP_1)
	v_fma_f64 v[2:3], v[18:19], v[178:179], v[2:3]
	v_add_f64_e64 v[2:3], v[52:53], -v[2:3]
	s_delay_alu instid0(VALU_DEP_1)
	v_fma_f64 v[52:53], v[52:53], 2.0, -v[2:3]
	ds_store_2addr_b64 v58, v[52:53], v[2:3] offset1:28
	v_mul_f64_e32 v[2:3], v[110:111], v[184:185]
	v_add3_u32 v52, 0, v6, v7
	v_mul_u32_u24_e32 v6, 0x1c0, v234
	v_lshlrev_b32_e32 v7, 3, v250
	s_delay_alu instid0(VALU_DEP_4) | instskip(NEXT) | instid1(VALU_DEP_1)
	v_fma_f64 v[2:3], v[20:21], v[182:183], v[2:3]
	v_add_f64_e64 v[2:3], v[54:55], -v[2:3]
	s_delay_alu instid0(VALU_DEP_1) | instskip(SKIP_4) | instid1(VALU_DEP_2)
	v_fma_f64 v[53:54], v[54:55], 2.0, -v[2:3]
	ds_store_2addr_b64 v52, v[53:54], v[2:3] offset1:28
	v_mul_u32_u24_e32 v2, 0x1c0, v231
	v_lshlrev_b32_e32 v3, 3, v249
	v_lshl_add_u32 v54, v255, 3, 0
	v_add3_u32 v53, 0, v2, v3
	v_mul_f64_e32 v[2:3], v[112:113], v[188:189]
	s_delay_alu instid0(VALU_DEP_1) | instskip(NEXT) | instid1(VALU_DEP_1)
	v_fma_f64 v[2:3], v[22:23], v[186:187], v[2:3]
	v_add_f64_e64 v[2:3], v[48:49], -v[2:3]
	s_delay_alu instid0(VALU_DEP_1)
	v_fma_f64 v[48:49], v[48:49], 2.0, -v[2:3]
	ds_store_2addr_b64 v53, v[48:49], v[2:3] offset1:28
	v_mul_f64_e32 v[2:3], v[114:115], v[192:193]
	v_add3_u32 v48, 0, v6, v7
	v_mul_u32_u24_e32 v6, 0x1c0, v236
	v_lshlrev_b32_e32 v7, 3, v252
	s_delay_alu instid0(VALU_DEP_4) | instskip(NEXT) | instid1(VALU_DEP_1)
	v_fma_f64 v[2:3], v[8:9], v[190:191], v[2:3]
	v_add_f64_e64 v[2:3], v[50:51], -v[2:3]
	s_delay_alu instid0(VALU_DEP_1)
	v_fma_f64 v[49:50], v[50:51], 2.0, -v[2:3]
	ds_store_2addr_b64 v48, v[49:50], v[2:3] offset1:28
	v_mul_u32_u24_e32 v2, 0x1c0, v238
	v_lshlrev_b32_e32 v3, 3, v251
	v_add3_u32 v50, 0, v6, v7
	v_mul_u32_u24_e32 v6, 0x1c0, v235
	v_lshlrev_b32_e32 v7, 3, v254
	s_delay_alu instid0(VALU_DEP_4) | instskip(SKIP_1) | instid1(VALU_DEP_3)
	v_add3_u32 v49, 0, v2, v3
	v_mul_f64_e32 v[2:3], v[116:117], v[196:197]
	v_add3_u32 v55, 0, v6, v7
	s_delay_alu instid0(VALU_DEP_2) | instskip(NEXT) | instid1(VALU_DEP_1)
	v_fma_f64 v[2:3], v[10:11], v[194:195], v[2:3]
	v_add_f64_e64 v[2:3], v[44:45], -v[2:3]
	s_delay_alu instid0(VALU_DEP_1) | instskip(SKIP_2) | instid1(VALU_DEP_1)
	v_fma_f64 v[44:45], v[44:45], 2.0, -v[2:3]
	ds_store_2addr_b64 v49, v[44:45], v[2:3] offset1:28
	v_mul_f64_e32 v[2:3], v[118:119], v[200:201]
	v_fma_f64 v[2:3], v[12:13], v[198:199], v[2:3]
	s_delay_alu instid0(VALU_DEP_1) | instskip(NEXT) | instid1(VALU_DEP_1)
	v_add_f64_e64 v[2:3], v[46:47], -v[2:3]
	v_fma_f64 v[44:45], v[46:47], 2.0, -v[2:3]
	ds_store_2addr_b64 v50, v[44:45], v[2:3] offset1:28
	v_mul_u32_u24_e32 v2, 0x1c0, v237
	v_lshlrev_b32_e32 v3, 3, v253
	s_delay_alu instid0(VALU_DEP_1) | instskip(SKIP_1) | instid1(VALU_DEP_1)
	v_add3_u32 v51, 0, v2, v3
	v_mul_f64_e32 v[2:3], v[120:121], v[204:205]
	v_fma_f64 v[2:3], v[14:15], v[202:203], v[2:3]
	s_delay_alu instid0(VALU_DEP_1) | instskip(NEXT) | instid1(VALU_DEP_1)
	v_add_f64_e64 v[2:3], v[40:41], -v[2:3]
	v_fma_f64 v[40:41], v[40:41], 2.0, -v[2:3]
	ds_store_2addr_b64 v51, v[40:41], v[2:3] offset1:28
	v_mul_f64_e32 v[2:3], v[218:219], v[208:209]
	s_delay_alu instid0(VALU_DEP_1) | instskip(NEXT) | instid1(VALU_DEP_1)
	v_fma_f64 v[2:3], v[4:5], v[206:207], v[2:3]
	v_add_f64_e64 v[2:3], v[42:43], -v[2:3]
	s_delay_alu instid0(VALU_DEP_1)
	v_fma_f64 v[40:41], v[42:43], 2.0, -v[2:3]
	ds_store_2addr_b64 v55, v[40:41], v[2:3] offset1:28
	s_and_saveexec_b32 s1, s0
	s_cbranch_execz .LBB0_25
; %bb.24:
	scratch_load_b128 v[40:43], off, off    ; 16-byte Folded Reload
	v_add_nc_u32_e32 v6, 0x3800, v54
	s_wait_loadcnt 0x0
	v_mul_f64_e32 v[2:3], v[42:43], v[140:141]
	scratch_load_b128 v[40:43], off, off offset:16 ; 16-byte Folded Reload
	s_wait_loadcnt 0x0
	v_fma_f64 v[2:3], v[42:43], v[138:139], v[2:3]
	s_delay_alu instid0(VALU_DEP_1) | instskip(NEXT) | instid1(VALU_DEP_1)
	v_add_f64_e64 v[2:3], v[0:1], -v[2:3]
	v_fma_f64 v[0:1], v[0:1], 2.0, -v[2:3]
	ds_store_2addr_b64 v6, v[0:1], v[2:3] offset0:112 offset1:140
.LBB0_25:
	s_wait_alu 0xfffe
	s_or_b32 exec_lo, exec_lo, s1
	v_mul_f64_e32 v[0:1], v[36:37], v[144:145]
	v_mul_f64_e32 v[2:3], v[38:39], v[148:149]
	;; [unrolled: 1-line block ×17, first 2 shown]
	global_wb scope:SCOPE_SE
	s_wait_dscnt 0x0
	s_barrier_signal -1
	s_barrier_wait -1
	global_inv scope:SCOPE_SE
	v_add_nc_u32_e32 v169, 0x400, v221
	v_add_nc_u32_e32 v168, 0x1000, v221
	;; [unrolled: 1-line block ×7, first 2 shown]
	v_fma_f64 v[0:1], v[122:123], v[142:143], -v[0:1]
	v_fma_f64 v[2:3], v[124:125], v[146:147], -v[2:3]
	v_fma_f64 v[32:33], v[126:127], v[150:151], -v[32:33]
	v_fma_f64 v[34:35], v[128:129], v[154:155], -v[34:35]
	v_fma_f64 v[28:29], v[130:131], v[158:159], -v[28:29]
	v_fma_f64 v[30:31], v[132:133], v[162:163], -v[30:31]
	v_fma_f64 v[24:25], v[134:135], v[166:167], -v[24:25]
	v_fma_f64 v[26:27], v[136:137], v[170:171], -v[26:27]
	v_fma_f64 v[18:19], v[108:109], v[178:179], -v[18:19]
	v_fma_f64 v[20:21], v[110:111], v[182:183], -v[20:21]
	v_fma_f64 v[22:23], v[112:113], v[186:187], -v[22:23]
	v_fma_f64 v[8:9], v[114:115], v[190:191], -v[8:9]
	v_fma_f64 v[10:11], v[116:117], v[194:195], -v[10:11]
	v_fma_f64 v[12:13], v[118:119], v[198:199], -v[12:13]
	v_fma_f64 v[14:15], v[120:121], v[202:203], -v[14:15]
	v_fma_f64 v[4:5], v[218:219], v[206:207], -v[4:5]
	v_fma_f64 v[16:17], v[106:107], v[174:175], -v[16:17]
	v_add_nc_u32_e32 v171, 0x2800, v221
	v_add_nc_u32_e32 v170, 0x800, v221
	v_add_f64_e64 v[0:1], v[74:75], -v[0:1]
	v_add_f64_e64 v[2:3], v[76:77], -v[2:3]
	;; [unrolled: 1-line block ×17, first 2 shown]
	ds_load_2addr_b64 v[6:9], v221 offset1:56
	ds_load_2addr_b64 v[10:13], v221 offset0:112 offset1:168
	s_wait_dscnt 0x1
	scratch_store_b128 off, v[6:9], off offset:64 ; 16-byte Folded Spill
	s_wait_dscnt 0x0
	scratch_store_b128 off, v[10:13], off offset:48 ; 16-byte Folded Spill
	v_fma_f64 v[74:75], v[74:75], 2.0, -v[0:1]
	v_fma_f64 v[76:77], v[76:77], 2.0, -v[2:3]
	v_fma_f64 v[78:79], v[78:79], 2.0, -v[62:63]
	v_add_nc_u32_e32 v9, 0x2000, v221
	v_fma_f64 v[80:81], v[80:81], 2.0, -v[68:69]
	v_fma_f64 v[82:83], v[82:83], 2.0, -v[72:73]
	;; [unrolled: 1-line block ×13, first 2 shown]
	ds_load_b64 v[120:121], v221 offset:15232
	ds_load_2addr_b64 v[16:19], v169 offset0:96 offset1:152
	ds_load_2addr_b64 v[88:91], v168 offset0:48 offset1:104
	;; [unrolled: 1-line block ×11, first 2 shown]
	ds_load_2addr_b64 v[40:43], v255 offset1:56
	ds_load_2addr_b64 v[36:39], v170 offset0:192 offset1:248
	ds_load_2addr_b64 v[32:35], v209 offset0:112 offset1:168
	;; [unrolled: 1-line block ×3, first 2 shown]
	v_fma_f64 v[146:147], v[216:217], 2.0, -v[114:115]
	global_wb scope:SCOPE_SE
	s_wait_storecnt_dscnt 0x0
	s_barrier_signal -1
	s_barrier_wait -1
	global_inv scope:SCOPE_SE
	ds_store_2addr_b64 v233, v[74:75], v[0:1] offset1:28
	ds_store_2addr_b64 v70, v[76:77], v[2:3] offset1:28
	;; [unrolled: 1-line block ×17, first 2 shown]
	s_and_saveexec_b32 s1, s0
	s_cbranch_execz .LBB0_27
; %bb.26:
	scratch_load_b128 v[0:3], off, off offset:16 th:TH_LOAD_LU ; 16-byte Folded Reload
	s_wait_loadcnt 0x0
	v_mul_f64_e32 v[0:1], v[2:3], v[140:141]
	scratch_load_b128 v[2:5], off, off th:TH_LOAD_LU ; 16-byte Folded Reload
	s_wait_loadcnt 0x0
	v_fma_f64 v[0:1], v[4:5], v[138:139], -v[0:1]
	v_add_nc_u32_e32 v4, 0x3800, v54
	s_delay_alu instid0(VALU_DEP_2) | instskip(NEXT) | instid1(VALU_DEP_1)
	v_add_f64_e64 v[0:1], v[64:65], -v[0:1]
	v_fma_f64 v[2:3], v[64:65], 2.0, -v[0:1]
	ds_store_2addr_b64 v4, v[2:3], v[0:1] offset0:112 offset1:140
.LBB0_27:
	s_wait_alu 0xfffe
	s_or_b32 exec_lo, exec_lo, s1
	v_add_nc_u32_e32 v3, 0x70, v220
	v_add_nc_u32_e32 v8, 0xa8, v220
	v_mul_u32_u24_e32 v2, 6, v220
	global_wb scope:SCOPE_SE
	s_wait_dscnt 0x0
	s_barrier_signal -1
	v_lshrrev_b16 v0, 3, v3
	v_lshrrev_b16 v1, 3, v8
	v_lshlrev_b32_e32 v2, 4, v2
	s_barrier_wait -1
	global_inv scope:SCOPE_SE
	v_and_b32_e32 v0, 31, v0
	v_and_b32_e32 v1, 31, v1
	s_clause 0x2
	global_load_b128 v[4:7], v2, s[8:9] offset:848
	global_load_b128 v[108:111], v2, s[8:9] offset:880
	;; [unrolled: 1-line block ×3, first 2 shown]
	v_mul_lo_u16 v0, v0, 37
	v_mul_lo_u16 v1, v1, 37
	s_mov_b32 s22, 0xe976ee23
	s_mov_b32 s10, 0x429ad128
	;; [unrolled: 1-line block ×3, first 2 shown]
	v_lshrrev_b16 v0, 8, v0
	v_lshrrev_b16 v1, 8, v1
	s_mov_b32 s11, 0xbfebfeb5
	s_mov_b32 s12, 0x5476071b
	;; [unrolled: 1-line block ×3, first 2 shown]
	v_mul_lo_u16 v0, v0, 56
	v_mul_lo_u16 v1, v1, 56
	s_mov_b32 s13, 0x3fe77f67
	s_mov_b32 s21, 0xbfd5d0dc
	s_wait_alu 0xfffe
	s_mov_b32 s16, s12
	v_sub_nc_u16 v0, v3, v0
	v_sub_nc_u16 v1, v8, v1
	v_add_nc_u32_e32 v8, 0xe0, v220
	s_mov_b32 s24, s20
	s_mov_b32 s0, 0xaaaaaaaa
	v_and_b32_e32 v179, 0xff, v0
	v_and_b32_e32 v178, 0xff, v1
	v_lshrrev_b16 v3, 3, v8
	s_mov_b32 s1, 0xbff2aaaa
	s_mov_b32 s14, 0x37c3f68c
	v_mul_u32_u24_e32 v0, 6, v179
	v_mul_u32_u24_e32 v1, 6, v178
	v_and_b32_e32 v3, 0xffff, v3
	s_mov_b32 s15, 0xbfdc38aa
	s_delay_alu instid0(VALU_DEP_3) | instskip(NEXT) | instid1(VALU_DEP_3)
	v_lshlrev_b32_e32 v0, 4, v0
	v_lshlrev_b32_e32 v1, 4, v1
	s_clause 0xb
	global_load_b128 v[126:129], v0, s[8:9] offset:848
	global_load_b128 v[130:133], v1, s[8:9] offset:848
	;; [unrolled: 1-line block ×12, first 2 shown]
	v_mul_u32_u24_e32 v2, 0x2493, v3
	s_clause 0x1
	global_load_b128 v[60:63], v1, s[8:9] offset:864
	global_load_b128 v[52:55], v1, s[8:9] offset:896
	v_lshrrev_b32_e32 v2, 16, v2
	s_delay_alu instid0(VALU_DEP_1) | instskip(NEXT) | instid1(VALU_DEP_1)
	v_mul_lo_u16 v0, v2, 56
	v_sub_nc_u16 v0, v8, v0
	s_delay_alu instid0(VALU_DEP_1) | instskip(NEXT) | instid1(VALU_DEP_1)
	v_and_b32_e32 v180, 0xffff, v0
	v_mul_u32_u24_e32 v0, 6, v180
	s_delay_alu instid0(VALU_DEP_1)
	v_lshlrev_b32_e32 v0, 4, v0
	s_clause 0x6
	global_load_b128 v[48:51], v1, s[8:9] offset:912
	global_load_b128 v[72:75], v0, s[8:9] offset:832
	;; [unrolled: 1-line block ×7, first 2 shown]
	ds_load_2addr_b64 v[140:143], v168 offset0:48 offset1:104
	ds_load_2addr_b64 v[148:151], v9 offset0:96 offset1:152
	;; [unrolled: 1-line block ×8, first 2 shown]
	s_wait_loadcnt_dscnt 0x1707
	v_mul_f64_e32 v[122:123], v[140:141], v[6:7]
	v_mul_f64_e32 v[124:125], v[142:143], v[6:7]
	v_mul_f64_e32 v[144:145], v[88:89], v[6:7]
	v_mul_f64_e32 v[6:7], v[90:91], v[6:7]
	s_wait_loadcnt_dscnt 0x1606
	v_mul_f64_e32 v[146:147], v[148:149], v[110:111]
	v_mul_f64_e32 v[152:153], v[150:151], v[110:111]
	v_mul_f64_e32 v[154:155], v[44:45], v[110:111]
	v_mul_f64_e32 v[110:111], v[46:47], v[110:111]
	;; [unrolled: 5-line block ×3, first 2 shown]
	s_wait_loadcnt_dscnt 0x1404
	v_mul_f64_e32 v[218:219], v[233:234], v[128:129]
	v_mul_f64_e32 v[222:223], v[104:105], v[128:129]
	s_wait_loadcnt_dscnt 0x1203
	v_mul_f64_e32 v[249:250], v[237:238], v[136:137]
	v_mul_f64_e32 v[136:137], v[100:101], v[136:137]
	s_wait_loadcnt 0x11
	v_mul_f64_e32 v[251:252], v[239:240], v[164:165]
	v_mul_f64_e32 v[164:165], v[102:103], v[164:165]
	s_wait_loadcnt_dscnt 0x1002
	v_mul_f64_e32 v[253:254], v[241:242], v[183:184]
	s_wait_loadcnt 0xf
	v_mul_f64_e32 v[174:175], v[243:244], v[187:188]
	v_mul_f64_e32 v[187:188], v[118:119], v[187:188]
	s_wait_dscnt 0x1
	v_mul_f64_e32 v[176:177], v[2:3], v[183:184]
	v_mul_f64_e32 v[8:9], v[116:117], v[183:184]
	;; [unrolled: 1-line block ×3, first 2 shown]
	s_wait_loadcnt_dscnt 0xe00
	v_mul_f64_e32 v[183:184], v[245:246], v[191:192]
	s_wait_loadcnt 0xd
	v_mul_f64_e32 v[12:13], v[247:248], v[195:196]
	v_mul_f64_e32 v[224:225], v[235:236], v[132:133]
	;; [unrolled: 1-line block ×3, first 2 shown]
	v_fma_f64 v[138:139], v[88:89], v[4:5], v[122:123]
	v_fma_f64 v[122:123], v[90:91], v[4:5], v[124:125]
	v_fma_f64 v[144:145], v[140:141], v[4:5], -v[144:145]
	v_fma_f64 v[124:125], v[142:143], v[4:5], -v[6:7]
	v_fma_f64 v[146:147], v[44:45], v[108:109], v[146:147]
	v_fma_f64 v[128:129], v[46:47], v[108:109], v[152:153]
	ds_load_2addr_b64 v[44:47], v221 offset1:56
	v_fma_f64 v[152:153], v[148:149], v[108:109], -v[154:155]
	v_fma_f64 v[132:133], v[150:151], v[108:109], -v[110:111]
	ds_load_2addr_b64 v[88:91], v172 offset0:16 offset1:72
	v_fma_f64 v[158:159], v[96:97], v[112:113], v[156:157]
	v_fma_f64 v[154:155], v[98:99], v[112:113], v[160:161]
	v_fma_f64 v[160:161], v[229:230], v[112:113], -v[166:167]
	v_fma_f64 v[156:157], v[231:232], v[112:113], -v[114:115]
	ds_load_2addr_b64 v[229:232], v171 offset0:176 offset1:232
	ds_load_2addr_b64 v[96:99], v171 offset0:64 offset1:120
	;; [unrolled: 1-line block ×3, first 2 shown]
	ds_load_2addr_b64 v[112:115], v255 offset1:56
	ds_load_2addr_b64 v[108:111], v170 offset0:192 offset1:248
	v_mul_f64_e32 v[14:15], v[94:95], v[195:196]
	v_mul_f64_e32 v[195:196], v[92:93], v[191:192]
	v_fma_f64 v[140:141], v[104:105], v[126:127], v[218:219]
	v_fma_f64 v[142:143], v[233:234], v[126:127], -v[222:223]
	v_fma_f64 v[148:149], v[100:101], v[134:135], v[249:250]
	v_fma_f64 v[150:151], v[237:238], v[134:135], -v[136:137]
	;; [unrolled: 2-line block ×3, first 2 shown]
	v_fma_f64 v[162:163], v[116:117], v[181:182], v[253:254]
	s_wait_dscnt 0x5
	v_mul_f64_e32 v[218:219], v[90:91], v[191:192]
	v_mul_f64_e32 v[191:192], v[26:27], v[191:192]
	v_fma_f64 v[116:117], v[118:119], v[185:186], v[174:175]
	v_fma_f64 v[118:119], v[243:244], v[185:186], -v[187:188]
	s_wait_loadcnt 0xc
	v_mul_f64_e32 v[187:188], v[84:85], v[199:200]
	s_wait_dscnt 0x4
	v_mul_f64_e32 v[174:175], v[229:230], v[199:200]
	v_fma_f64 v[166:167], v[241:242], v[181:182], -v[8:9]
	s_wait_dscnt 0x3
	v_mul_f64_e32 v[8:9], v[98:99], v[199:200]
	v_mul_f64_e32 v[199:200], v[22:23], v[199:200]
	v_fma_f64 v[176:177], v[18:19], v[181:182], v[176:177]
	v_fma_f64 v[10:11], v[2:3], v[181:182], -v[10:11]
	s_wait_loadcnt_dscnt 0xa01
	v_mul_f64_e32 v[181:182], v[112:113], v[207:208]
	v_fma_f64 v[18:19], v[92:93], v[189:190], v[183:184]
	v_fma_f64 v[2:3], v[94:95], v[193:194], v[12:13]
	s_wait_loadcnt_dscnt 0x900
	v_mul_f64_e32 v[12:13], v[108:109], v[216:217]
	v_mul_f64_e32 v[92:93], v[36:37], v[216:217]
	v_fma_f64 v[126:127], v[106:107], v[130:131], v[224:225]
	ds_load_2addr_b64 v[104:107], v209 offset0:112 offset1:168
	ds_load_2addr_b64 v[100:103], v173 offset0:32 offset1:88
	ds_load_b64 v[164:165], v221 offset:15232
	v_mul_f64_e32 v[222:223], v[231:232], v[203:204]
	v_mul_f64_e32 v[185:186], v[86:87], v[203:204]
	;; [unrolled: 1-line block ×3, first 2 shown]
	v_fma_f64 v[130:131], v[235:236], v[130:131], -v[226:227]
	global_wb scope:SCOPE_SE
	s_wait_loadcnt_dscnt 0x0
	s_barrier_signal -1
	s_barrier_wait -1
	v_fma_f64 v[14:15], v[247:248], v[193:194], -v[14:15]
	v_fma_f64 v[183:184], v[245:246], v[189:190], -v[195:196]
	global_inv scope:SCOPE_SE
	scratch_load_b128 v[238:241], off, off offset:64 th:TH_LOAD_LU ; 16-byte Folded Reload
	v_add_nc_u32_e32 v208, 0xc00, v221
	v_mul_f64_e32 v[94:95], v[104:105], v[62:63]
	v_mul_f64_e32 v[62:63], v[32:33], v[62:63]
	;; [unrolled: 1-line block ×4, first 2 shown]
	v_fma_f64 v[26:27], v[26:27], v[189:190], v[218:219]
	v_fma_f64 v[90:91], v[90:91], v[189:190], -v[191:192]
	v_mul_f64_e32 v[189:190], v[114:115], v[50:51]
	v_mul_f64_e32 v[50:51], v[42:43], v[50:51]
	v_fma_f64 v[84:85], v[84:85], v[197:198], v[174:175]
	v_mul_f64_e32 v[174:175], v[110:111], v[74:75]
	v_mul_f64_e32 v[74:75], v[38:39], v[74:75]
	v_mul_f64_e32 v[191:192], v[88:89], v[70:71]
	v_mul_f64_e32 v[70:71], v[24:25], v[70:71]
	v_fma_f64 v[187:188], v[229:230], v[197:198], -v[187:188]
	v_mul_f64_e32 v[195:196], v[106:107], v[66:67]
	v_mul_f64_e32 v[66:67], v[34:35], v[66:67]
	v_fma_f64 v[8:9], v[22:23], v[197:198], v[8:9]
	v_fma_f64 v[22:23], v[98:99], v[197:198], -v[199:200]
	v_mul_f64_e32 v[98:99], v[96:97], v[58:59]
	v_mul_f64_e32 v[58:59], v[20:21], v[58:59]
	v_fma_f64 v[40:41], v[40:41], v[205:206], v[181:182]
	v_mul_f64_e32 v[181:182], v[102:103], v[82:83]
	v_mul_f64_e32 v[82:83], v[30:31], v[82:83]
	v_fma_f64 v[12:13], v[36:37], v[214:215], v[12:13]
	v_fma_f64 v[36:37], v[108:109], v[214:215], -v[92:93]
	v_mul_f64_e32 v[92:93], v[164:165], v[78:79]
	v_mul_f64_e32 v[78:79], v[120:121], v[78:79]
	v_fma_f64 v[185:186], v[231:232], v[201:202], -v[185:186]
	v_fma_f64 v[112:113], v[112:113], v[205:206], -v[203:204]
	v_fma_f64 v[86:87], v[86:87], v[201:202], v[222:223]
	v_lshl_add_u32 v229, v179, 3, 0
	v_lshl_add_u32 v230, v178, 3, 0
	;; [unrolled: 1-line block ×3, first 2 shown]
	s_delay_alu instid0(VALU_DEP_3) | instskip(SKIP_1) | instid1(VALU_DEP_4)
	v_add_nc_u32_e32 v232, 0x1800, v229
	v_add_nc_u32_e32 v233, 0x1c00, v229
	;; [unrolled: 1-line block ×3, first 2 shown]
	v_fma_f64 v[32:33], v[32:33], v[60:61], v[94:95]
	v_fma_f64 v[60:61], v[104:105], v[60:61], -v[62:63]
	v_fma_f64 v[28:29], v[28:29], v[52:53], v[193:194]
	v_fma_f64 v[52:53], v[100:101], v[52:53], -v[54:55]
	v_add_f64_e32 v[104:105], v[183:184], v[132:133]
	v_add_f64_e64 v[94:95], v[166:167], -v[156:157]
	v_fma_f64 v[42:43], v[42:43], v[48:49], v[189:190]
	v_fma_f64 v[48:49], v[114:115], v[48:49], -v[50:51]
	v_add_nc_u32_e32 v235, 0x2800, v230
	v_fma_f64 v[38:39], v[38:39], v[72:73], v[174:175]
	v_fma_f64 v[50:51], v[110:111], v[72:73], -v[74:75]
	v_fma_f64 v[24:25], v[24:25], v[68:69], v[191:192]
	v_fma_f64 v[54:55], v[88:89], v[68:69], -v[70:71]
	v_add_f64_e32 v[68:69], v[176:177], v[158:159]
	v_fma_f64 v[34:35], v[34:35], v[64:65], v[195:196]
	v_fma_f64 v[62:63], v[106:107], v[64:65], -v[66:67]
	v_add_f64_e32 v[70:71], v[10:11], v[160:161]
	v_add_f64_e64 v[10:11], v[10:11], -v[160:161]
	v_fma_f64 v[20:21], v[20:21], v[56:57], v[98:99]
	v_fma_f64 v[56:57], v[96:97], v[56:57], -v[58:59]
	v_add_f64_e32 v[74:75], v[138:139], v[8:9]
	v_fma_f64 v[30:31], v[30:31], v[80:81], v[181:182]
	v_fma_f64 v[58:59], v[102:103], v[80:81], -v[82:83]
	v_add_f64_e32 v[80:81], v[90:91], v[152:153]
	v_add_f64_e64 v[82:83], v[152:153], -v[90:91]
	v_fma_f64 v[64:65], v[120:121], v[76:77], v[92:93]
	v_fma_f64 v[66:67], v[164:165], v[76:77], -v[78:79]
	v_add_f64_e32 v[76:77], v[144:145], v[22:23]
	v_add_f64_e64 v[22:23], v[144:145], -v[22:23]
	v_add_f64_e32 v[78:79], v[26:27], v[146:147]
	v_add_f64_e32 v[88:89], v[162:163], v[154:155]
	;; [unrolled: 1-line block ×3, first 2 shown]
	v_add_f64_e64 v[92:93], v[162:163], -v[154:155]
	v_add_f64_e32 v[96:97], v[122:123], v[84:85]
	v_add_f64_e32 v[98:99], v[124:125], v[187:188]
	v_add_f64_e64 v[84:85], v[122:123], -v[84:85]
	v_add_f64_e64 v[100:101], v[124:125], -v[187:188]
	v_add_f64_e32 v[102:103], v[18:19], v[128:129]
	v_add_f64_e64 v[18:19], v[128:129], -v[18:19]
	v_add_f64_e64 v[106:107], v[132:133], -v[183:184]
	v_add_f64_e64 v[72:73], v[176:177], -v[158:159]
	v_add_f64_e64 v[8:9], v[138:139], -v[8:9]
	v_add_f64_e64 v[26:27], v[146:147], -v[26:27]
	v_add_f64_e32 v[108:109], v[116:117], v[40:41]
	v_add_f64_e32 v[110:111], v[118:119], v[112:113]
	v_add_f64_e64 v[40:41], v[116:117], -v[40:41]
	v_add_f64_e64 v[112:113], v[118:119], -v[112:113]
	v_add_f64_e32 v[116:117], v[142:143], v[185:186]
	v_add_f64_e64 v[118:119], v[142:143], -v[185:186]
	v_add_f64_e32 v[120:121], v[2:3], v[148:149]
	v_add_f64_e32 v[122:123], v[14:15], v[150:151]
	v_add_f64_e64 v[2:3], v[148:149], -v[2:3]
	v_add_f64_e64 v[14:15], v[150:151], -v[14:15]
	v_add_f64_e32 v[124:125], v[12:13], v[42:43]
	v_add_f64_e32 v[128:129], v[36:37], v[48:49]
	v_add_f64_e64 v[12:13], v[12:13], -v[42:43]
	;; [unrolled: 4-line block ×8, first 2 shown]
	v_add_f64_e64 v[138:139], v[76:77], -v[70:71]
	v_add_f64_e64 v[68:69], v[68:69], -v[78:79]
	;; [unrolled: 1-line block ×5, first 2 shown]
	v_add_f64_e32 v[142:143], v[82:83], v[22:23]
	v_add_f64_e64 v[146:147], v[82:83], -v[22:23]
	v_add_f64_e64 v[22:23], v[22:23], -v[10:11]
	v_add_f64_e32 v[148:149], v[96:97], v[88:89]
	v_add_f64_e32 v[150:151], v[98:99], v[90:91]
	v_add_f64_e64 v[152:153], v[96:97], -v[88:89]
	v_add_f64_e64 v[154:155], v[98:99], -v[90:91]
	;; [unrolled: 1-line block ×5, first 2 shown]
	v_add_f64_e32 v[156:157], v[18:19], v[84:85]
	v_add_f64_e32 v[158:159], v[106:107], v[100:101]
	v_add_f64_e64 v[160:161], v[18:19], -v[84:85]
	v_add_f64_e64 v[162:163], v[106:107], -v[100:101]
	;; [unrolled: 1-line block ×8, first 2 shown]
	v_add_f64_e32 v[114:115], v[140:141], v[86:87]
	v_add_f64_e64 v[86:87], v[140:141], -v[86:87]
	v_add_f64_e32 v[140:141], v[26:27], v[8:9]
	v_add_f64_e64 v[144:145], v[26:27], -v[8:9]
	v_add_f64_e64 v[8:9], v[8:9], -v[72:73]
	v_add_f64_e32 v[166:167], v[116:117], v[110:111]
	v_add_f64_e64 v[176:177], v[116:117], -v[110:111]
	v_add_f64_e64 v[110:111], v[110:111], -v[122:123]
	;; [unrolled: 1-line block ×3, first 2 shown]
	v_add_f64_e32 v[186:187], v[42:43], v[124:125]
	v_add_f64_e32 v[56:57], v[78:79], v[56:57]
	;; [unrolled: 1-line block ×5, first 2 shown]
	v_mul_f64_e32 v[68:69], s[18:19], v[68:69]
	v_mul_f64_e32 v[70:71], s[18:19], v[70:71]
	;; [unrolled: 1-line block ×4, first 2 shown]
	v_add_f64_e32 v[10:11], v[142:143], v[10:11]
	v_mul_f64_e32 v[142:143], s[22:23], v[146:147]
	v_mul_f64_e32 v[146:147], s[10:11], v[22:23]
	v_add_f64_e32 v[102:103], v[102:103], v[148:149]
	v_add_f64_e32 v[104:105], v[104:105], v[150:151]
	;; [unrolled: 1-line block ×3, first 2 shown]
	v_add_f64_e64 v[26:27], v[72:73], -v[26:27]
	v_mul_f64_e32 v[88:89], s[18:19], v[88:89]
	v_mul_f64_e32 v[90:91], s[18:19], v[90:91]
	;; [unrolled: 1-line block ×3, first 2 shown]
	v_add_f64_e32 v[92:93], v[156:157], v[92:93]
	v_add_f64_e32 v[94:95], v[158:159], v[94:95]
	v_mul_f64_e32 v[156:157], s[22:23], v[160:161]
	v_mul_f64_e32 v[158:159], s[22:23], v[162:163]
	;; [unrolled: 1-line block ×3, first 2 shown]
	v_add_f64_e32 v[194:195], v[32:33], v[28:29]
	v_mul_f64_e32 v[150:151], s[4:5], v[98:99]
	v_add_f64_e32 v[196:197], v[60:61], v[52:53]
	v_add_f64_e64 v[198:199], v[32:33], -v[28:29]
	v_mul_f64_e32 v[162:163], s[10:11], v[100:101]
	v_add_f64_e32 v[164:165], v[114:115], v[108:109]
	v_add_f64_e64 v[174:175], v[114:115], -v[108:109]
	v_add_f64_e64 v[108:109], v[108:109], -v[120:121]
	v_add_f64_e32 v[178:179], v[2:3], v[86:87]
	v_add_f64_e64 v[182:183], v[2:3], -v[86:87]
	v_add_f64_e64 v[86:87], v[86:87], -v[40:41]
	;; [unrolled: 1-line block ×6, first 2 shown]
	v_add_f64_e32 v[218:219], v[34:35], v[30:31]
	v_add_f64_e64 v[224:225], v[34:35], -v[30:31]
	v_add_f64_e64 v[30:31], v[30:31], -v[50:51]
	v_add_f64_e32 v[72:73], v[140:141], v[72:73]
	v_fma_f64 v[74:75], v[74:75], s[4:5], v[68:69]
	s_wait_alu 0xfffe
	v_fma_f64 v[68:69], v[136:137], s[16:17], -v[68:69]
	v_fma_f64 v[78:79], v[136:137], s[12:13], -v[78:79]
	v_add_f64_e32 v[136:137], v[44:45], v[62:63]
	v_fma_f64 v[44:45], v[76:77], s[4:5], v[70:71]
	v_fma_f64 v[76:77], v[138:139], s[12:13], -v[80:81]
	v_fma_f64 v[70:71], v[138:139], s[16:17], -v[70:71]
	v_fma_f64 v[138:139], v[82:83], s[20:21], v[142:143]
	v_fma_f64 v[22:23], v[22:23], s[10:11], -v[142:143]
	v_fma_f64 v[82:83], v[82:83], s[24:25], -v[146:147]
	v_add_f64_e32 v[142:143], v[46:47], v[104:105]
	v_fma_f64 v[46:47], v[96:97], s[4:5], v[88:89]
	v_fma_f64 v[96:97], v[98:99], s[4:5], v[90:91]
	v_fma_f64 v[98:99], v[152:153], s[12:13], -v[148:149]
	v_mul_f64_e32 v[140:141], s[22:23], v[144:145]
	v_mul_f64_e32 v[144:145], s[10:11], v[8:9]
	v_fma_f64 v[146:147], v[18:19], s[20:21], v[156:157]
	v_fma_f64 v[148:149], v[106:107], s[20:21], v[158:159]
	v_fma_f64 v[100:101], v[100:101], s[10:11], -v[158:159]
	v_fma_f64 v[18:19], v[18:19], s[24:25], -v[160:161]
	scratch_load_b128 v[158:161], off, off offset:48 th:TH_LOAD_LU ; 16-byte Folded Reload
	v_add_f64_e32 v[180:181], v[14:15], v[118:119]
	v_add_f64_e64 v[184:185], v[14:15], -v[118:119]
	v_add_f64_e64 v[2:3], v[40:41], -v[2:3]
	v_add_f64_e32 v[120:121], v[120:121], v[164:165]
	v_add_f64_e64 v[118:119], v[118:119], -v[112:113]
	v_add_f64_e64 v[190:191], v[42:43], -v[124:125]
	;; [unrolled: 1-line block ×13, first 2 shown]
	v_add_f64_e32 v[216:217], v[20:21], v[24:25]
	v_add_f64_e64 v[222:223], v[20:21], -v[24:25]
	v_add_f64_e64 v[24:25], v[24:25], -v[38:39]
	v_add_f64_e32 v[122:123], v[122:123], v[166:167]
	v_add_f64_e32 v[40:41], v[178:179], v[40:41]
	v_mul_f64_e32 v[108:109], s[18:19], v[108:109]
	v_mul_f64_e32 v[110:111], s[18:19], v[110:111]
	;; [unrolled: 1-line block ×5, first 2 shown]
	v_add_f64_e32 v[126:127], v[126:127], v[186:187]
	v_add_f64_e32 v[130:131], v[130:131], v[188:189]
	;; [unrolled: 1-line block ×4, first 2 shown]
	v_add_f64_e64 v[32:33], v[12:13], -v[32:33]
	v_add_f64_e64 v[60:61], v[36:37], -v[60:61]
	;; [unrolled: 1-line block ×3, first 2 shown]
	v_mul_f64_e32 v[164:165], s[4:5], v[114:115]
	v_add_f64_e32 v[12:13], v[194:195], v[12:13]
	v_add_f64_e32 v[36:37], v[196:197], v[36:37]
	v_mul_f64_e32 v[194:195], s[22:23], v[198:199]
	v_mul_f64_e32 v[196:197], s[22:23], v[200:201]
	;; [unrolled: 1-line block ×4, first 2 shown]
	v_add_f64_e32 v[50:51], v[218:219], v[50:51]
	v_mul_f64_e32 v[218:219], s[22:23], v[224:225]
	v_mul_f64_e32 v[224:225], s[10:11], v[30:31]
	v_fma_f64 v[80:81], v[26:27], s[20:21], v[140:141]
	v_fma_f64 v[8:9], v[8:9], s[10:11], -v[140:141]
	v_fma_f64 v[26:27], v[26:27], s[24:25], -v[144:145]
	;; [unrolled: 1-line block ×3, first 2 shown]
	v_add_f64_e64 v[14:15], v[112:113], -v[14:15]
	v_add_f64_e64 v[20:21], v[38:39], -v[20:21]
	v_add_f64_e32 v[112:113], v[180:181], v[112:113]
	v_mul_f64_e32 v[180:181], s[22:23], v[184:185]
	v_mul_f64_e32 v[184:185], s[10:11], v[118:119]
	;; [unrolled: 1-line block ×4, first 2 shown]
	v_add_f64_e32 v[38:39], v[216:217], v[38:39]
	v_mul_f64_e32 v[204:205], s[4:5], v[66:67]
	v_mul_f64_e32 v[216:217], s[22:23], v[222:223]
	v_mul_f64_e32 v[222:223], s[10:11], v[24:25]
	v_fma_f64 v[88:89], v[152:153], s[16:17], -v[88:89]
	v_fma_f64 v[90:91], v[154:155], s[16:17], -v[90:91]
	;; [unrolled: 1-line block ×4, first 2 shown]
	v_add_f64_e32 v[152:153], v[4:5], v[122:123]
	v_fma_f64 v[4:5], v[114:115], s[4:5], v[108:109]
	v_fma_f64 v[114:115], v[116:117], s[4:5], v[110:111]
	v_fma_f64 v[154:155], v[176:177], s[12:13], -v[166:167]
	v_fma_f64 v[110:111], v[176:177], s[16:17], -v[110:111]
	v_fma_f64 v[156:157], v[2:3], s[20:21], v[178:179]
	v_fma_f64 v[86:87], v[86:87], s[10:11], -v[178:179]
	v_fma_f64 v[2:3], v[2:3], s[24:25], -v[182:183]
	v_add_f64_e32 v[162:163], v[6:7], v[130:131]
	v_add_f64_e32 v[16:17], v[16:17], v[54:55]
	;; [unrolled: 1-line block ×3, first 2 shown]
	v_mul_f64_e32 v[188:189], s[4:5], v[48:49]
	v_mul_f64_e32 v[132:133], s[18:19], v[132:133]
	;; [unrolled: 1-line block ×4, first 2 shown]
	v_fma_f64 v[62:63], v[62:63], s[0:1], v[136:137]
	v_fma_f64 v[116:117], v[174:175], s[12:13], -v[164:165]
	v_fma_f64 v[108:109], v[174:175], s[16:17], -v[108:109]
	v_fma_f64 v[166:167], v[32:33], s[20:21], v[194:195]
	v_fma_f64 v[174:175], v[60:61], s[20:21], v[196:197]
	v_fma_f64 v[28:29], v[28:29], s[10:11], -v[194:195]
	v_fma_f64 v[32:33], v[32:33], s[24:25], -v[198:199]
	;; [unrolled: 1-line block ×3, first 2 shown]
	v_fma_f64 v[182:183], v[34:35], s[20:21], v[218:219]
	v_fma_f64 v[30:31], v[30:31], s[10:11], -v[218:219]
	v_fma_f64 v[34:35], v[34:35], s[24:25], -v[224:225]
	v_fma_f64 v[138:139], v[10:11], s[14:15], v[138:139]
	v_fma_f64 v[104:105], v[104:105], s[0:1], v[142:143]
	v_mul_f64_e32 v[186:187], s[4:5], v[42:43]
	v_fma_f64 v[118:119], v[118:119], s[10:11], -v[180:181]
	v_fma_f64 v[6:7], v[42:43], s[4:5], v[124:125]
	v_fma_f64 v[42:43], v[48:49], s[4:5], v[128:129]
	v_fma_f64 v[124:125], v[190:191], s[16:17], -v[124:125]
	v_fma_f64 v[128:129], v[192:193], s[16:17], -v[128:129]
	s_wait_loadcnt 0x1
	v_add_f64_e32 v[226:227], v[238:239], v[56:57]
	v_add_f64_e32 v[140:141], v[240:241], v[102:103]
	v_fma_f64 v[52:53], v[52:53], s[10:11], -v[196:197]
	v_fma_f64 v[178:179], v[214:215], s[12:13], -v[204:205]
	;; [unrolled: 1-line block ×3, first 2 shown]
	v_fma_f64 v[80:81], v[72:73], s[14:15], v[80:81]
	v_fma_f64 v[8:9], v[72:73], s[14:15], v[8:9]
	;; [unrolled: 1-line block ×18, first 2 shown]
	v_fma_f64 v[164:165], v[192:193], s[12:13], -v[188:189]
	v_fma_f64 v[0:1], v[64:65], s[4:5], v[132:133]
	v_fma_f64 v[64:65], v[66:67], s[4:5], v[134:135]
	v_fma_f64 v[66:67], v[206:207], s[12:13], -v[202:203]
	v_fma_f64 v[132:133], v[206:207], s[16:17], -v[132:133]
	v_add_f64_e32 v[44:45], v[44:45], v[62:63]
	v_add_f64_e32 v[70:71], v[70:71], v[62:63]
	;; [unrolled: 1-line block ×3, first 2 shown]
	v_fma_f64 v[58:59], v[12:13], s[14:15], v[166:167]
	v_fma_f64 v[28:29], v[12:13], s[14:15], v[28:29]
	v_fma_f64 v[12:13], v[12:13], s[14:15], v[32:33]
	v_fma_f64 v[32:33], v[36:37], s[14:15], v[60:61]
	v_fma_f64 v[60:61], v[50:51], s[14:15], v[182:183]
	v_fma_f64 v[30:31], v[50:51], s[14:15], v[30:31]
	v_fma_f64 v[34:35], v[50:51], s[14:15], v[34:35]
	v_fma_f64 v[56:57], v[56:57], s[0:1], v[226:227]
	v_fma_f64 v[102:103], v[102:103], s[0:1], v[140:141]
	v_fma_f64 v[118:119], v[112:113], s[14:15], v[118:119]
	v_fma_f64 v[52:53], v[36:37], s[14:15], v[52:53]
	v_fma_f64 v[24:25], v[38:39], s[14:15], v[24:25]
	v_add_f64_e32 v[76:77], v[96:97], v[104:105]
	v_add_f64_e32 v[96:97], v[144:145], v[104:105]
	v_fma_f64 v[48:49], v[190:191], s[12:13], -v[186:187]
	v_fma_f64 v[134:135], v[214:215], s[16:17], -v[134:135]
	v_add_nc_u32_e32 v236, 0x3000, v231
	v_add_nc_u32_e32 v237, 0x3800, v231
	v_add_f64_e32 v[42:43], v[42:43], v[130:131]
	v_add_f64_e32 v[0:1], v[0:1], v[40:41]
	;; [unrolled: 1-line block ×5, first 2 shown]
	v_add_f64_e64 v[132:133], v[62:63], -v[8:9]
	v_add_f64_e32 v[74:75], v[74:75], v[56:57]
	v_add_f64_e32 v[68:69], v[68:69], v[56:57]
	;; [unrolled: 1-line block ×10, first 2 shown]
	s_wait_loadcnt 0x0
	v_add_f64_e32 v[150:151], v[158:159], v[120:121]
	v_add_f64_e32 v[160:161], v[160:161], v[126:127]
	v_fma_f64 v[158:159], v[14:15], s[20:21], v[180:181]
	v_fma_f64 v[14:15], v[14:15], s[24:25], -v[184:185]
	v_fma_f64 v[180:181], v[20:21], s[20:21], v[216:217]
	v_fma_f64 v[20:21], v[20:21], s[24:25], -v[222:223]
	v_fma_f64 v[120:121], v[120:121], s[0:1], v[150:151]
	v_fma_f64 v[126:127], v[126:127], s[0:1], v[160:161]
	;; [unrolled: 1-line block ×7, first 2 shown]
	v_add_f64_e32 v[38:39], v[114:115], v[122:123]
	v_add_f64_e32 v[114:115], v[128:129], v[130:131]
	v_add_f64_e64 v[128:129], v[56:57], -v[22:23]
	v_add_f64_e32 v[22:23], v[22:23], v[56:57]
	v_add_f64_e64 v[122:123], v[44:45], -v[80:81]
	v_add_f64_e64 v[56:57], v[90:91], -v[100:101]
	v_add_f64_e32 v[4:5], v[4:5], v[120:121]
	v_add_f64_e32 v[50:51], v[116:117], v[120:121]
	;; [unrolled: 1-line block ×9, first 2 shown]
	v_add_f64_e64 v[8:9], v[68:69], -v[10:11]
	v_add_f64_e64 v[10:11], v[74:75], -v[138:139]
	ds_store_2addr_b64 v221, v[226:227], v[120:121] offset1:56
	ds_store_2addr_b64 v221, v[124:125], v[128:129] offset0:112 offset1:168
	ds_store_2addr_b64 v169, v[22:23], v[8:9] offset0:96 offset1:152
	;; [unrolled: 1-line block ×3, first 2 shown]
	v_add_f64_e32 v[156:157], v[24:25], v[116:117]
	v_add_f64_e64 v[158:159], v[116:117], -v[24:25]
	scratch_load_b32 v116, off, off offset:32 th:TH_LOAD_LU ; 4-byte Folded Reload
	v_add_f64_e32 v[6:7], v[6:7], v[126:127]
	v_add_f64_e32 v[48:49], v[48:49], v[126:127]
	v_add_f64_e64 v[126:127], v[70:71], -v[26:27]
	v_add_f64_e32 v[68:69], v[26:27], v[70:71]
	v_add_f64_e32 v[26:27], v[82:83], v[46:47]
	;; [unrolled: 1-line block ×5, first 2 shown]
	v_add_f64_e64 v[78:79], v[78:79], -v[92:93]
	v_add_f64_e64 v[80:81], v[88:89], -v[18:19]
	v_add_f64_e32 v[88:89], v[18:19], v[88:89]
	v_add_f64_e64 v[18:19], v[46:47], -v[82:83]
	v_add_f64_e32 v[46:47], v[106:107], v[4:5]
	v_add_f64_e32 v[54:55], v[134:135], v[54:55]
	v_add_f64_e64 v[74:75], v[76:77], -v[72:73]
	v_add_f64_e32 v[72:73], v[72:73], v[76:77]
	v_add_f64_e32 v[76:77], v[14:15], v[102:103]
	v_add_f64_e64 v[82:83], v[50:51], -v[118:119]
	v_add_f64_e32 v[50:51], v[118:119], v[50:51]
	v_add_f64_e64 v[14:15], v[102:103], -v[14:15]
	v_add_f64_e32 v[134:135], v[84:85], v[96:97]
	v_add_f64_e64 v[84:85], v[96:97], -v[84:85]
	v_add_f64_e32 v[92:93], v[32:33], v[110:111]
	;; [unrolled: 2-line block ×4, first 2 shown]
	v_add_f64_e64 v[34:35], v[40:41], -v[34:35]
	v_add_f64_e64 v[4:5], v[4:5], -v[106:107]
	;; [unrolled: 1-line block ×4, first 2 shown]
	v_add_f64_e32 v[94:95], v[94:95], v[38:39]
	v_add_f64_e64 v[138:139], v[114:115], -v[12:13]
	v_add_f64_e32 v[144:145], v[28:29], v[108:109]
	v_add_f64_e64 v[108:109], v[108:109], -v[28:29]
	;; [unrolled: 2-line block ×3, first 2 shown]
	v_add_f64_e32 v[166:167], v[36:37], v[64:65]
	v_add_f64_e32 v[90:91], v[112:113], v[6:7]
	v_add_f64_e64 v[96:97], v[48:49], -v[52:53]
	v_add_f64_e32 v[48:49], v[52:53], v[48:49]
	v_add_f64_e32 v[52:53], v[60:61], v[0:1]
	v_add_f64_e64 v[6:7], v[6:7], -v[112:113]
	v_add_f64_e64 v[0:1], v[0:1], -v[60:61]
	v_add_f64_e32 v[112:113], v[86:87], v[98:99]
	v_add_f64_e64 v[86:87], v[98:99], -v[86:87]
	v_add_f64_e32 v[98:99], v[2:3], v[104:105]
	v_add_f64_e64 v[104:105], v[42:43], -v[58:59]
	s_wait_loadcnt 0x0
	ds_store_b64 v116, v[26:27]
	ds_store_2addr_b64 v208, v[44:45], v[56:57] offset0:120 offset1:176
	ds_store_2addr_b64 v168, v[62:63], v[78:79] offset0:104 offset1:160
	ds_store_b64 v221, v[18:19] offset:5824
	ds_store_2addr_b64 v232, v[150:151], v[46:47] offset0:16 offset1:72
	ds_store_2addr_b64 v232, v[76:77], v[82:83] offset0:128 offset1:184
	;; [unrolled: 1-line block ×8, first 2 shown]
	ds_store_2addr_b64 v237, v[30:31], v[34:35] offset1:56
	ds_store_b64 v229, v[4:5] offset:8960
	ds_store_b64 v230, v[6:7] offset:12096
	;; [unrolled: 1-line block ×3, first 2 shown]
	v_add_nc_u32_e32 v4, 0x2000, v221
	v_add_f64_e64 v[154:155], v[54:55], -v[20:21]
	v_add_f64_e32 v[164:165], v[20:21], v[54:55]
	global_wb scope:SCOPE_SE
	s_wait_dscnt 0x0
	s_barrier_signal -1
	s_barrier_wait -1
	global_inv scope:SCOPE_SE
	ds_load_2addr_b64 v[0:3], v221 offset1:56
	ds_load_2addr_b64 v[12:15], v170 offset0:80 offset1:136
	ds_load_2addr_b64 v[20:23], v172 offset0:16 offset1:72
	;; [unrolled: 1-line block ×13, first 2 shown]
	ds_load_2addr_b64 v[52:55], v255 offset1:56
	ds_load_2addr_b64 v[60:63], v168 offset0:160 offset1:216
	ds_load_2addr_b64 v[64:67], v171 offset0:176 offset1:232
	ds_load_b64 v[117:118], v221 offset:15232
	global_wb scope:SCOPE_SE
	s_wait_dscnt 0x0
	s_barrier_signal -1
	s_barrier_wait -1
	global_inv scope:SCOPE_SE
	ds_store_2addr_b64 v221, v[136:137], v[122:123] offset1:56
	ds_store_2addr_b64 v221, v[126:127], v[130:131] offset0:112 offset1:168
	ds_store_2addr_b64 v169, v[132:133], v[68:69] offset0:96 offset1:152
	;; [unrolled: 1-line block ×3, first 2 shown]
	ds_store_b64 v116, v[74:75]
	ds_store_2addr_b64 v208, v[80:81], v[134:135] offset0:120 offset1:176
	ds_store_2addr_b64 v168, v[84:85], v[88:89] offset0:104 offset1:160
	ds_store_b64 v221, v[72:73] offset:5824
	ds_store_2addr_b64 v232, v[152:153], v[106:107] offset0:16 offset1:72
	ds_store_2addr_b64 v232, v[110:111], v[112:113] offset0:128 offset1:184
	;; [unrolled: 1-line block ×8, first 2 shown]
	ds_store_2addr_b64 v237, v[158:159], v[164:165] offset1:56
	ds_store_b64 v229, v[94:95] offset:8960
	ds_store_b64 v230, v[146:147] offset:12096
	;; [unrolled: 1-line block ×3, first 2 shown]
	global_wb scope:SCOPE_SE
	s_wait_dscnt 0x0
	s_barrier_signal -1
	s_barrier_wait -1
	global_inv scope:SCOPE_SE
	s_and_saveexec_b32 s0, vcc_lo
	s_cbranch_execz .LBB0_29
; %bb.28:
	v_add_nc_u32_e32 v68, 0x150, v220
	v_mov_b32_e32 v116, 0
	v_add_nc_u32_e32 v72, 0xe0, v220
	v_add_nc_u32_e32 v96, 0xa8, v220
	v_lshlrev_b32_e32 v153, 2, v220
	v_lshlrev_b32_e32 v115, 2, v68
	v_dual_mov_b32 v77, v116 :: v_dual_add_nc_u32 v68, 0x118, v220
	v_dual_mov_b32 v69, v116 :: v_dual_lshlrev_b32 v76, 2, v72
	s_delay_alu instid0(VALU_DEP_3) | instskip(NEXT) | instid1(VALU_DEP_3)
	v_lshlrev_b64_e32 v[70:71], 4, v[115:116]
	v_dual_mov_b32 v97, v116 :: v_dual_lshlrev_b32 v68, 2, v68
	v_lshlrev_b32_e32 v96, 2, v96
	s_delay_alu instid0(VALU_DEP_4) | instskip(SKIP_1) | instid1(VALU_DEP_4)
	v_lshlrev_b64_e32 v[76:77], 4, v[76:77]
	v_dual_mov_b32 v122, v116 :: v_dual_add_nc_u32 v121, 0x70, v220
	v_lshlrev_b64_e32 v[68:69], 4, v[68:69]
	v_add_co_u32 v119, vcc_lo, s8, v70
	s_wait_alu 0xfffd
	v_add_co_ci_u32_e32 v120, vcc_lo, s9, v71, vcc_lo
	v_dual_mov_b32 v138, v116 :: v_dual_lshlrev_b32 v121, 2, v121
	s_delay_alu instid0(VALU_DEP_4)
	v_add_co_u32 v92, vcc_lo, s8, v68
	s_wait_alu 0xfffd
	v_add_co_ci_u32_e32 v93, vcc_lo, s9, v69, vcc_lo
	global_load_b128 v[68:71], v[119:120], off offset:6240
	v_add_co_u32 v94, vcc_lo, s8, v76
	s_clause 0x2
	global_load_b128 v[72:75], v[92:93], off offset:6240
	global_load_b128 v[84:87], v[119:120], off offset:6208
	;; [unrolled: 1-line block ×3, first 2 shown]
	s_wait_alu 0xfffd
	v_add_co_ci_u32_e32 v95, vcc_lo, s9, v77, vcc_lo
	s_clause 0x3
	global_load_b128 v[76:79], v[92:93], off offset:6224
	global_load_b128 v[88:91], v[94:95], off offset:6224
	;; [unrolled: 1-line block ×4, first 2 shown]
	v_lshlrev_b64_e32 v[92:93], 4, v[96:97]
	v_lshlrev_b64_e32 v[129:130], 4, v[121:122]
	v_dual_mov_b32 v154, v116 :: v_dual_add_nc_u32 v121, 56, v220
	v_add_nc_u32_e32 v201, 0x2800, v221
	v_add_nc_u32_e32 v205, 0x1000, v221
	v_add_co_u32 v133, vcc_lo, s8, v92
	s_wait_alu 0xfffd
	v_add_co_ci_u32_e32 v134, vcc_lo, s9, v93, vcc_lo
	s_clause 0x3
	global_load_b128 v[96:99], v[94:95], off offset:6240
	global_load_b128 v[104:107], v[133:134], off offset:6240
	;; [unrolled: 1-line block ×4, first 2 shown]
	v_lshlrev_b32_e32 v137, 2, v121
	s_clause 0x1
	global_load_b128 v[121:124], v[119:120], off offset:6256
	global_load_b128 v[125:128], v[119:120], off offset:6224
	v_add_co_u32 v119, vcc_lo, s8, v129
	s_wait_alu 0xfffd
	v_add_co_ci_u32_e32 v120, vcc_lo, s9, v130, vcc_lo
	s_clause 0x1
	global_load_b128 v[129:132], v[133:134], off offset:6224
	global_load_b128 v[133:136], v[133:134], off offset:6256
	v_lshlrev_b64_e32 v[155:156], 4, v[137:138]
	s_clause 0x3
	global_load_b128 v[137:140], v[119:120], off offset:6224
	global_load_b128 v[141:144], v[119:120], off offset:6208
	;; [unrolled: 1-line block ×4, first 2 shown]
	v_lshlrev_b64_e32 v[169:170], 4, v[153:154]
	v_add_nc_u32_e32 v197, 0x3800, v221
	v_add_nc_u32_e32 v240, 0x1800, v221
	v_add_co_u32 v119, vcc_lo, s8, v155
	s_wait_alu 0xfffd
	v_add_co_ci_u32_e32 v120, vcc_lo, s9, v156, vcc_lo
	s_clause 0x3
	global_load_b128 v[153:156], v[119:120], off offset:6224
	global_load_b128 v[157:160], v[119:120], off offset:6208
	;; [unrolled: 1-line block ×4, first 2 shown]
	v_add_co_u32 v119, vcc_lo, s8, v169
	s_wait_alu 0xfffd
	v_add_co_ci_u32_e32 v120, vcc_lo, s9, v170, vcc_lo
	s_clause 0x3
	global_load_b128 v[169:172], v[119:120], off offset:6224
	global_load_b128 v[173:176], v[119:120], off offset:6208
	;; [unrolled: 1-line block ×4, first 2 shown]
	ds_load_2addr_b64 v[185:188], v201 offset0:176 offset1:232
	ds_load_2addr_b64 v[189:192], v205 offset0:160 offset1:216
	v_add_nc_u32_e32 v119, 0x1c00, v221
	ds_load_2addr_b64 v[197:200], v197 offset1:56
	ds_load_2addr_b64 v[201:204], v201 offset0:64 offset1:120
	v_add_nc_u32_e32 v241, 0x3000, v221
	ds_load_2addr_b64 v[205:208], v205 offset0:48 offset1:104
	ds_load_2addr_b64 v[193:196], v119 offset0:112 offset1:168
	ds_load_b64 v[228:229], v221 offset:15232
	v_add_nc_u32_e32 v209, 0x800, v221
	v_add_nc_u32_e32 v242, 0x2400, v221
	s_mov_b32 s8, 0x134454ff
	s_mov_b32 s9, 0x3fee6f0e
	s_mov_b32 s11, 0xbfee6f0e
	s_wait_alu 0xfffe
	s_mov_b32 s10, s8
	s_mov_b32 s5, 0x3fe2cf23
	;; [unrolled: 1-line block ×4, first 2 shown]
	s_wait_loadcnt 0x1b
	v_mul_f64_e32 v[119:120], v[66:67], v[70:71]
	s_wait_dscnt 0x6
	v_mul_f64_e32 v[70:71], v[187:188], v[70:71]
	s_wait_loadcnt 0x1a
	v_mul_f64_e32 v[214:215], v[64:65], v[74:75]
	v_mul_f64_e32 v[74:75], v[185:186], v[74:75]
	s_wait_loadcnt 0x19
	v_mul_f64_e32 v[216:217], v[62:63], v[86:87]
	s_wait_dscnt 0x5
	v_mul_f64_e32 v[86:87], v[191:192], v[86:87]
	s_wait_loadcnt 0x18
	v_mul_f64_e32 v[218:219], v[60:61], v[82:83]
	v_mul_f64_e32 v[222:223], v[189:190], v[82:83]
	;; [unrolled: 7-line block ×3, first 2 shown]
	s_wait_loadcnt 0x14
	v_mul_f64_e32 v[232:233], v[52:53], v[110:111]
	v_mul_f64_e32 v[110:111], v[197:198], v[110:111]
	v_add_nc_u32_e32 v82, 0x2000, v221
	v_mul_f64_e32 v[224:225], v[58:59], v[78:79]
	v_mul_f64_e32 v[78:79], v[195:196], v[78:79]
	s_wait_loadcnt 0x12
	v_mul_f64_e32 v[236:237], v[48:49], v[106:107]
	v_mul_f64_e32 v[106:107], v[201:202], v[106:107]
	s_wait_loadcnt 0x10
	v_mul_f64_e32 v[238:239], v[44:45], v[102:103]
	v_mul_f64_e32 v[102:103], v[205:206], v[102:103]
	v_fma_f64 v[119:120], v[68:69], v[187:188], -v[119:120]
	v_fma_f64 v[187:188], v[66:67], v[68:69], v[70:71]
	ds_load_2addr_b64 v[66:69], v82 offset0:96 offset1:152
	v_fma_f64 v[185:186], v[72:73], v[185:186], -v[214:215]
	v_mul_f64_e32 v[214:215], v[50:51], v[98:99]
	v_mul_f64_e32 v[98:99], v[203:204], v[98:99]
	v_fma_f64 v[234:235], v[64:65], v[72:73], v[74:75]
	v_fma_f64 v[191:192], v[84:85], v[191:192], -v[216:217]
	v_fma_f64 v[216:217], v[62:63], v[84:85], v[86:87]
	ds_load_2addr_b64 v[62:65], v240 offset0:128 offset1:184
	ds_load_2addr_b64 v[82:85], v241 offset0:144 offset1:200
	v_fma_f64 v[189:190], v[80:81], v[189:190], -v[218:219]
	v_fma_f64 v[218:219], v[60:61], v[80:81], v[222:223]
	v_mul_f64_e32 v[222:223], v[46:47], v[94:95]
	v_mul_f64_e32 v[94:95], v[207:208], v[94:95]
	v_fma_f64 v[193:194], v[88:89], v[193:194], -v[226:227]
	v_fma_f64 v[90:91], v[56:57], v[88:89], v[90:91]
	s_wait_loadcnt 0xf
	v_mul_f64_e32 v[56:57], v[117:118], v[123:124]
	s_wait_dscnt 0x3
	v_mul_f64_e32 v[123:124], v[228:229], v[123:124]
	v_fma_f64 v[199:200], v[112:113], v[199:200], -v[230:231]
	v_fma_f64 v[54:55], v[54:55], v[112:113], v[114:115]
	s_wait_loadcnt 0xe
	v_mul_f64_e32 v[112:113], v[24:25], v[127:128]
	s_wait_dscnt 0x2
	v_mul_f64_e32 v[114:115], v[66:67], v[127:128]
	v_fma_f64 v[127:128], v[108:109], v[197:198], -v[232:233]
	s_wait_loadcnt 0xd
	v_mul_f64_e32 v[197:198], v[42:43], v[131:132]
	s_wait_loadcnt 0xc
	v_mul_f64_e32 v[226:227], v[38:39], v[135:136]
	v_fma_f64 v[108:109], v[52:53], v[108:109], v[110:111]
	ds_load_2addr_b64 v[70:73], v209 offset0:80 offset1:136
	v_fma_f64 v[195:196], v[76:77], v[195:196], -v[224:225]
	s_wait_dscnt 0x2
	v_mul_f64_e32 v[52:53], v[64:65], v[131:132]
	s_wait_dscnt 0x1
	v_mul_f64_e32 v[110:111], v[84:85], v[135:136]
	s_wait_loadcnt 0xb
	v_mul_f64_e32 v[131:132], v[40:41], v[139:140]
	s_wait_loadcnt 0xa
	v_mul_f64_e32 v[135:136], v[30:31], v[143:144]
	v_fma_f64 v[224:225], v[58:59], v[76:77], v[78:79]
	ds_load_2addr_b64 v[58:61], v209 offset0:192 offset1:248
	ds_load_2addr_b64 v[74:77], v242 offset0:80 offset1:136
	;; [unrolled: 1-line block ×4, first 2 shown]
	v_fma_f64 v[201:202], v[104:105], v[201:202], -v[236:237]
	v_fma_f64 v[104:105], v[48:49], v[104:105], v[106:107]
	s_wait_loadcnt 0x6
	v_mul_f64_e32 v[230:231], v[28:29], v[159:160]
	v_fma_f64 v[205:206], v[100:101], v[205:206], -v[238:239]
	v_fma_f64 v[100:101], v[44:45], v[100:101], v[102:103]
	v_fma_f64 v[203:204], v[96:97], v[203:204], -v[214:215]
	v_fma_f64 v[96:97], v[50:51], v[96:97], v[98:99]
	v_mul_f64_e32 v[98:99], v[34:35], v[151:152]
	v_mul_f64_e32 v[214:215], v[36:37], v[147:148]
	v_mul_f64_e32 v[139:140], v[62:63], v[139:140]
	s_wait_loadcnt 0x1
	v_mul_f64_e32 v[236:237], v[26:27], v[179:180]
	v_mul_f64_e32 v[232:233], v[14:15], v[175:176]
	v_add_nc_u32_e32 v50, 0x400, v221
	v_fma_f64 v[207:208], v[92:93], v[207:208], -v[222:223]
	v_fma_f64 v[92:93], v[46:47], v[92:93], v[94:95]
	v_mul_f64_e32 v[94:95], v[32:33], v[167:168]
	s_wait_dscnt 0x3
	v_mul_f64_e32 v[106:107], v[60:61], v[143:144]
	v_mul_f64_e32 v[143:144], v[82:83], v[147:148]
	v_mul_f64_e32 v[147:148], v[22:23], v[155:156]
	v_mul_f64_e32 v[102:103], v[58:59], v[159:160]
	s_wait_dscnt 0x0
	v_mul_f64_e32 v[159:160], v[88:89], v[163:164]
	v_mul_f64_e32 v[151:152], v[76:77], v[151:152]
	;; [unrolled: 1-line block ×5, first 2 shown]
	v_fma_f64 v[228:229], v[121:122], v[228:229], -v[56:57]
	v_fma_f64 v[117:118], v[117:118], v[121:122], v[123:124]
	s_wait_loadcnt 0x0
	v_mul_f64_e32 v[121:122], v[16:17], v[183:184]
	v_mul_f64_e32 v[123:124], v[78:79], v[171:172]
	;; [unrolled: 1-line block ×3, first 2 shown]
	v_fma_f64 v[66:67], v[125:126], v[66:67], -v[112:113]
	v_fma_f64 v[24:25], v[24:25], v[125:126], v[114:115]
	v_mul_f64_e32 v[114:115], v[86:87], v[183:184]
	v_fma_f64 v[64:65], v[129:130], v[64:65], -v[197:198]
	v_fma_f64 v[125:126], v[42:43], v[129:130], v[52:53]
	v_fma_f64 v[84:85], v[133:134], v[84:85], -v[226:227]
	v_fma_f64 v[110:111], v[38:39], v[133:134], v[110:111]
	v_fma_f64 v[38:39], v[137:138], v[62:63], -v[131:132]
	v_fma_f64 v[62:63], v[141:142], v[60:61], -v[135:136]
	v_mul_f64_e32 v[155:156], v[80:81], v[155:156]
	v_mul_f64_e32 v[112:113], v[72:73], v[175:176]
	v_mul_lo_u32 v46, s3, v212
	v_mul_lo_u32 v47, s2, v213
	v_mad_co_u64_u32 v[56:57], null, s2, v212, 0
	v_fma_f64 v[76:77], v[149:150], v[76:77], -v[98:99]
	v_fma_f64 v[98:99], v[145:146], v[82:83], -v[214:215]
	ds_load_2addr_b64 v[42:45], v221 offset0:112 offset1:168
	v_fma_f64 v[40:41], v[40:41], v[137:138], v[139:140]
	ds_load_2addr_b64 v[50:53], v50 offset0:96 offset1:152
	v_add_f64_e32 v[137:138], v[12:13], v[216:217]
	v_add3_u32 v57, v57, v47, v46
	ds_load_2addr_b64 v[46:49], v221 offset1:56
	v_fma_f64 v[82:83], v[165:166], v[74:75], -v[94:95]
	v_fma_f64 v[30:31], v[30:31], v[141:142], v[106:107]
	v_fma_f64 v[106:107], v[36:37], v[145:146], v[143:144]
	v_fma_f64 v[36:37], v[153:154], v[80:81], -v[147:148]
	v_fma_f64 v[80:81], v[157:158], v[58:59], -v[230:231]
	v_fma_f64 v[58:59], v[18:19], v[161:162], v[159:160]
	v_fma_f64 v[74:75], v[177:178], v[68:69], -v[236:237]
	v_fma_f64 v[254:255], v[161:162], v[88:89], -v[222:223]
	v_fma_f64 v[88:89], v[32:33], v[165:166], v[167:168]
	v_fma_f64 v[18:19], v[169:170], v[78:79], -v[163:164]
	v_add_f64_e32 v[161:162], v[218:219], v[54:55]
	v_add_f64_e32 v[165:166], v[224:225], v[234:235]
	v_fma_f64 v[121:122], v[181:182], v[86:87], -v[121:122]
	v_fma_f64 v[20:21], v[20:21], v[169:170], v[123:124]
	v_fma_f64 v[78:79], v[26:27], v[177:178], v[171:172]
	v_add_f64_e32 v[167:168], v[92:93], v[108:109]
	v_add_f64_e32 v[169:170], v[90:91], v[96:97]
	v_fma_f64 v[114:115], v[16:17], v[181:182], v[114:115]
	v_add_f64_e32 v[177:178], v[64:65], v[201:202]
	v_add_f64_e32 v[214:215], v[125:126], v[104:105]
	;; [unrolled: 1-line block ×4, first 2 shown]
	v_fma_f64 v[32:33], v[173:174], v[72:73], -v[232:233]
	v_fma_f64 v[28:29], v[28:29], v[157:158], v[102:103]
	v_fma_f64 v[22:23], v[22:23], v[153:154], v[155:156]
	;; [unrolled: 1-line block ×3, first 2 shown]
	v_add_f64_e32 v[173:174], v[10:11], v[218:219]
	v_add_f64_e32 v[68:69], v[191:192], v[228:229]
	v_add_f64_e32 v[94:95], v[66:67], v[119:120]
	v_fma_f64 v[34:35], v[34:35], v[149:150], v[151:152]
	v_add_f64_e32 v[181:182], v[38:39], v[76:77]
	v_add_f64_e32 v[179:180], v[62:63], v[98:99]
	v_add_f64_e64 v[16:17], v[66:67], -v[191:192]
	v_add_f64_e64 v[60:61], v[119:120], -v[228:229]
	;; [unrolled: 1-line block ×4, first 2 shown]
	v_add_f64_e32 v[102:103], v[191:192], v[70:71]
	v_add_f64_e64 v[112:113], v[24:25], -v[216:217]
	v_add_f64_e64 v[123:124], v[187:188], -v[117:118]
	v_add_f64_e32 v[129:130], v[216:217], v[117:118]
	v_add_f64_e64 v[131:132], v[216:217], -v[24:25]
	v_add_f64_e64 v[133:134], v[117:118], -v[187:188]
	v_add_f64_e32 v[135:136], v[24:25], v[187:188]
	scratch_store_b64 off, v[58:59], off offset:80 ; 8-byte Folded Spill
	v_add_f64_e32 v[143:144], v[189:190], v[199:200]
	v_add_f64_e32 v[149:150], v[195:196], v[185:186]
	;; [unrolled: 1-line block ×4, first 2 shown]
	v_fma_f64 v[161:162], v[161:162], -0.5, v[10:11]
	v_fma_f64 v[10:11], v[165:166], -0.5, v[10:11]
	v_add_f64_e32 v[236:237], v[80:81], v[254:255]
	v_add_f64_e32 v[238:239], v[36:37], v[82:83]
	;; [unrolled: 1-line block ×3, first 2 shown]
	v_fma_f64 v[165:166], v[167:168], -0.5, v[8:9]
	v_fma_f64 v[167:168], v[169:170], -0.5, v[8:9]
	s_wait_dscnt 0x2
	v_add_f64_e32 v[169:170], v[205:206], v[44:45]
	v_add_f64_e32 v[248:249], v[20:21], v[78:79]
	v_fma_f64 v[214:215], v[214:215], -0.5, v[6:7]
	v_fma_f64 v[175:176], v[175:176], -0.5, v[44:45]
	;; [unrolled: 1-line block ×4, first 2 shown]
	v_add_f64_e32 v[240:241], v[32:33], v[121:122]
	v_add_f64_e32 v[244:245], v[28:29], v[58:59]
	;; [unrolled: 1-line block ×3, first 2 shown]
	v_add_f64_e64 v[139:140], v[195:196], -v[189:190]
	v_fma_f64 v[68:69], v[68:69], -0.5, v[70:71]
	v_fma_f64 v[70:71], v[94:95], -0.5, v[70:71]
	v_add_f64_e32 v[94:95], v[14:15], v[114:115]
	v_add_f64_e64 v[141:142], v[185:186], -v[199:200]
	v_fma_f64 v[177:178], v[179:180], -0.5, v[42:43]
	v_fma_f64 v[179:180], v[181:182], -0.5, v[42:43]
	v_add_f64_e32 v[181:182], v[6:7], v[100:101]
	scratch_load_b64 v[6:7], off, off offset:80 th:TH_LOAD_LU ; 8-byte Folded Reload
	v_add_f64_e64 v[145:146], v[189:190], -v[195:196]
	v_add_f64_e64 v[147:148], v[199:200], -v[185:186]
	s_wait_dscnt 0x1
	v_add_f64_e32 v[151:152], v[189:190], v[52:53]
	v_add_f64_e64 v[153:154], v[224:225], -v[218:219]
	v_add_f64_e64 v[159:160], v[234:235], -v[54:55]
	v_add_f64_e64 v[163:164], v[218:219], -v[224:225]
	v_add_f64_e64 v[171:172], v[54:55], -v[234:235]
	v_add_f64_e64 v[183:184], v[193:194], -v[207:208]
	v_add_f64_e64 v[197:198], v[203:204], -v[127:128]
	v_add_f64_e32 v[221:222], v[30:31], v[106:107]
	v_add_f64_e32 v[226:227], v[40:41], v[34:35]
	v_add_f64_e64 v[230:231], v[207:208], -v[193:194]
	v_add_f64_e64 v[232:233], v[127:128], -v[203:204]
	v_fma_f64 v[129:130], v[129:130], -0.5, v[12:13]
	v_fma_f64 v[12:13], v[135:136], -0.5, v[12:13]
	v_add_f64_e32 v[135:136], v[207:208], v[50:51]
	v_add_f64_e64 v[250:251], v[90:91], -v[92:93]
	v_fma_f64 v[143:144], v[143:144], -0.5, v[52:53]
	v_fma_f64 v[52:53], v[149:150], -0.5, v[52:53]
	;; [unrolled: 1-line block ×4, first 2 shown]
	v_add_f64_e64 v[155:156], v[96:97], -v[108:109]
	v_add_f64_e64 v[157:158], v[92:93], -v[90:91]
	s_wait_dscnt 0x0
	v_add_f64_e32 v[26:27], v[80:81], v[48:49]
	v_fma_f64 v[236:237], v[236:237], -0.5, v[48:49]
	v_fma_f64 v[48:49], v[238:239], -0.5, v[48:49]
	v_fma_f64 v[238:239], v[240:241], -0.5, v[46:47]
	v_fma_f64 v[240:241], v[242:243], -0.5, v[46:47]
	v_add_f64_e32 v[242:243], v[2:3], v[28:29]
	v_fma_f64 v[244:245], v[244:245], -0.5, v[2:3]
	v_fma_f64 v[246:247], v[246:247], -0.5, v[2:3]
	;; [unrolled: 1-line block ×4, first 2 shown]
	v_add_f64_e32 v[252:253], v[0:1], v[14:15]
	v_add_f64_e64 v[0:1], v[108:109], -v[96:97]
	v_add_f64_e32 v[58:59], v[16:17], v[60:61]
	v_add_f64_e64 v[2:3], v[64:65], -v[205:206]
	;; [unrolled: 2-line block ×7, first 2 shown]
	v_fma_f64 v[221:222], v[221:222], -0.5, v[4:5]
	v_fma_f64 v[226:227], v[226:227], -0.5, v[4:5]
	v_add_f64_e32 v[4:5], v[4:5], v[30:31]
	v_add_f64_e32 v[147:148], v[153:154], v[159:160]
	;; [unrolled: 1-line block ×4, first 2 shown]
	v_add_f64_e64 v[183:184], v[38:39], -v[62:63]
	v_add_f64_e32 v[197:198], v[230:231], v[232:233]
	v_add_f64_e64 v[230:231], v[76:77], -v[98:99]
	v_add_f64_e64 v[232:233], v[62:63], -v[38:39]
	v_add_f64_e32 v[102:103], v[66:67], v[102:103]
	v_add_f64_e64 v[153:154], v[100:101], -v[125:126]
	v_add_f64_e32 v[155:156], v[250:251], v[155:156]
	v_add_f64_e64 v[163:164], v[110:111], -v[104:105]
	v_add_f64_e64 v[66:67], v[66:67], -v[119:120]
	v_dual_mov_b32 v16, v254 :: v_dual_mov_b32 v17, v255
	v_add_f64_e32 v[8:9], v[8:9], v[92:93]
	v_add_f64_e32 v[42:43], v[62:63], v[42:43]
	;; [unrolled: 1-line block ×4, first 2 shown]
	v_add_f64_e64 v[191:192], v[191:192], -v[228:229]
	v_add_f64_e64 v[189:190], v[189:190], -v[199:200]
	;; [unrolled: 1-line block ×3, first 2 shown]
	v_add_f64_e32 v[169:170], v[64:65], v[169:170]
	v_add_f64_e32 v[157:158], v[157:158], v[0:1]
	v_add_f64_e64 v[0:1], v[98:99], -v[76:77]
	v_add_f64_e64 v[100:101], v[100:101], -v[110:111]
	;; [unrolled: 1-line block ×3, first 2 shown]
	v_add_f64_e32 v[250:251], v[2:3], v[72:73]
	v_add_f64_e64 v[2:3], v[40:41], -v[30:31]
	v_add_f64_e64 v[72:73], v[34:35], -v[106:107]
	;; [unrolled: 1-line block ×3, first 2 shown]
	v_add_f64_e32 v[112:113], v[112:113], v[131:132]
	v_add_f64_e32 v[131:132], v[24:25], v[137:138]
	v_add_f64_e64 v[24:25], v[24:25], -v[187:188]
	v_add_f64_e32 v[137:138], v[195:196], v[151:152]
	v_add_f64_e32 v[139:140], v[139:140], v[145:146]
	v_add_f64_e64 v[145:146], v[30:31], -v[40:41]
	v_add_f64_e32 v[151:152], v[224:225], v[173:174]
	v_add_f64_e64 v[173:174], v[216:217], -v[117:118]
	v_add_f64_e64 v[216:217], v[36:37], -v[80:81]
	;; [unrolled: 1-line block ×4, first 2 shown]
	v_add_f64_e32 v[181:182], v[125:126], v[181:182]
	v_add_f64_e64 v[125:126], v[125:126], -v[104:105]
	v_add_f64_e32 v[183:184], v[183:184], v[230:231]
	v_add_f64_e64 v[205:206], v[205:206], -v[84:85]
	v_add_f64_e64 v[64:65], v[64:65], -v[201:202]
	;; [unrolled: 1-line block ×4, first 2 shown]
	v_add_f64_e32 v[153:154], v[153:154], v[163:164]
	v_add_f64_e64 v[163:164], v[106:107], -v[34:35]
	v_add_f64_e32 v[242:243], v[22:23], v[242:243]
	s_mov_b32 s2, 0x4755a5e
	v_add_f64_e32 v[8:9], v[90:91], v[8:9]
	v_add_f64_e32 v[42:43], v[38:39], v[42:43]
	v_add_f64_e64 v[90:91], v[90:91], -v[96:97]
	s_mov_b32 s3, 0xbfe2cf23
	s_wait_alu 0xfffe
	s_mov_b32 s4, s2
	v_add_f64_e64 v[30:31], v[30:31], -v[106:107]
	v_add_f64_e32 v[230:231], v[232:233], v[0:1]
	v_add_f64_e64 v[0:1], v[82:83], -v[16:17]
	v_add_f64_e32 v[232:233], v[2:3], v[72:73]
	v_add_f64_e32 v[72:73], v[119:120], v[102:103]
	v_add_f64_e64 v[2:3], v[18:19], -v[32:33]
	v_add_f64_e32 v[119:120], v[131:132], v[187:188]
	v_add_f64_e64 v[187:188], v[218:219], -v[54:55]
	v_add_f64_e64 v[218:219], v[40:41], -v[34:35]
	v_add_f64_e32 v[40:41], v[40:41], v[4:5]
	v_add_f64_e64 v[4:5], v[22:23], -v[28:29]
	v_add_f64_e64 v[102:103], v[74:75], -v[121:122]
	v_add_f64_e32 v[137:138], v[185:186], v[137:138]
	v_add_f64_e32 v[151:152], v[151:152], v[234:235]
	v_add_f64_e64 v[131:132], v[32:33], -v[18:19]
	v_add_f64_e64 v[185:186], v[121:122], -v[74:75]
	;; [unrolled: 1-line block ×3, first 2 shown]
	v_add_f64_e32 v[38:39], v[203:204], v[135:136]
	v_add_f64_e64 v[135:136], v[22:23], -v[88:89]
	v_add_f64_e32 v[104:105], v[181:182], v[104:105]
	v_fma_f64 v[181:182], v[64:65], s[8:9], v[212:213]
	v_add_f64_e64 v[32:33], v[32:33], -v[121:122]
	v_dual_mov_b32 v204, v17 :: v_dual_mov_b32 v203, v16
	v_add_f64_e32 v[145:146], v[145:146], v[163:164]
	v_add_f64_e64 v[163:164], v[80:81], -v[36:37]
	v_fma_f64 v[80:81], v[24:25], s[8:9], v[68:69]
	v_add_f64_e32 v[8:9], v[8:9], v[96:97]
	v_fma_f64 v[68:69], v[24:25], s[10:11], v[68:69]
	v_add_f64_e32 v[216:217], v[216:217], v[0:1]
	v_add_f64_e64 v[0:1], v[36:37], -v[82:83]
	v_add_f64_e32 v[36:37], v[36:37], v[26:27]
	v_add_f64_e32 v[34:35], v[40:41], v[34:35]
	scratch_store_b64 off, v[4:5], off offset:64 ; 8-byte Folded Spill
	v_add_f64_e64 v[4:5], v[28:29], -v[22:23]
	v_add_f64_e32 v[26:27], v[2:3], v[102:103]
	v_add_f64_e32 v[2:3], v[119:120], v[117:118]
	v_add_f64_e64 v[22:23], v[14:15], -v[114:115]
	v_add_f64_e64 v[102:103], v[20:21], -v[14:15]
	v_add_f64_e32 v[185:186], v[131:132], v[185:186]
	v_add_f64_e64 v[117:118], v[18:19], -v[74:75]
	v_add_f64_e32 v[119:120], v[18:19], v[46:47]
	v_fma_f64 v[18:19], v[66:67], s[10:11], v[129:130]
	v_fma_f64 v[46:47], v[66:67], s[8:9], v[129:130]
	v_add_f64_e64 v[129:130], v[14:15], -v[20:21]
	v_add_f64_e32 v[131:132], v[20:21], v[252:253]
	v_fma_f64 v[14:15], v[191:192], s[8:9], v[12:13]
	v_fma_f64 v[12:13], v[191:192], s[10:11], v[12:13]
	;; [unrolled: 1-line block ×5, first 2 shown]
	s_wait_alu 0xfffe
	v_fma_f64 v[68:69], v[173:174], s[4:5], v[68:69]
	v_fma_f64 v[16:17], v[0:1], s[8:9], v[244:245]
	v_add_f64_e32 v[36:37], v[82:83], v[36:37]
	scratch_store_b64 off, v[4:5], off offset:96 ; 8-byte Folded Spill
	v_add_f64_e32 v[4:5], v[228:229], v[72:73]
	scratch_store_b64 off, v[163:164], off offset:88 ; 8-byte Folded Spill
	v_fma_f64 v[72:73], v[173:174], s[10:11], v[70:71]
	v_fma_f64 v[70:71], v[173:174], s[8:9], v[70:71]
	;; [unrolled: 1-line block ×4, first 2 shown]
	scratch_store_b128 off, v[2:5], off     ; 16-byte Folded Spill
	v_add_f64_e32 v[4:5], v[199:200], v[137:138]
	v_add_f64_e32 v[2:3], v[151:152], v[54:55]
	v_fma_f64 v[54:55], v[223:224], s[10:11], v[143:144]
	v_fma_f64 v[137:138], v[187:188], s[10:11], v[52:53]
	;; [unrolled: 1-line block ×9, first 2 shown]
	scratch_store_b128 off, v[2:5], off offset:16 ; 16-byte Folded Spill
	v_add_f64_e32 v[4:5], v[127:128], v[38:39]
	v_add_f64_e32 v[2:3], v[8:9], v[108:109]
	v_fma_f64 v[8:9], v[195:196], s[10:11], v[161:162]
	v_fma_f64 v[108:109], v[195:196], s[8:9], v[161:162]
	;; [unrolled: 1-line block ×11, first 2 shown]
	s_wait_loadcnt 0x0
	v_add_f64_e64 v[96:97], v[28:29], -v[6:7]
	v_add_f64_e64 v[28:29], v[20:21], -v[78:79]
	v_fma_f64 v[20:21], v[223:224], s[8:9], v[143:144]
	v_add_f64_e32 v[143:144], v[201:202], v[169:170]
	v_add_f64_e32 v[169:170], v[76:77], v[42:43]
	v_fma_f64 v[42:43], v[193:194], s[10:11], v[165:166]
	v_fma_f64 v[76:77], v[193:194], s[8:9], v[165:166]
	;; [unrolled: 1-line block ×25, first 2 shown]
	v_add_f64_e64 v[225:226], v[203:204], -v[82:83]
	scratch_load_b64 v[82:83], off, off offset:96 th:TH_LOAD_LU ; 8-byte Folded Reload
	v_add_f64_e64 v[236:237], v[6:7], -v[88:89]
	v_dual_mov_b32 v164, v7 :: v_dual_mov_b32 v163, v6
	v_fma_f64 v[44:45], v[96:97], s[8:9], v[48:49]
	v_fma_f64 v[221:222], v[28:29], s[10:11], v[238:239]
	;; [unrolled: 1-line block ×12, first 2 shown]
	v_add_f64_e64 v[205:206], v[78:79], -v[114:115]
	v_fma_f64 v[252:253], v[64:65], s[4:5], v[12:13]
	v_fma_f64 v[12:13], v[64:65], s[2:3], v[14:15]
	v_add_f64_e32 v[64:65], v[84:85], v[143:144]
	v_add_f64_e64 v[14:15], v[114:115], -v[78:79]
	v_fma_f64 v[187:188], v[30:31], s[10:11], v[179:180]
	v_fma_f64 v[179:180], v[30:31], s[8:9], v[179:180]
	v_fma_f64 v[240:241], v[22:23], s[8:9], v[240:241]
	v_fma_f64 v[193:194], v[193:194], s[2:3], v[165:166]
	v_fma_f64 v[38:39], v[62:63], s[2:3], v[189:190]
	v_fma_f64 v[212:213], v[234:235], s[2:3], v[212:213]
	v_fma_f64 v[84:85], v[112:113], s[0:1], v[125:126]
	v_add_f64_e32 v[125:126], v[131:132], v[78:79]
	scratch_load_b64 v[78:79], off, off offset:88 th:TH_LOAD_LU ; 8-byte Folded Reload
	v_fma_f64 v[227:228], v[100:101], s[2:3], v[167:168]
	v_fma_f64 v[100:101], v[100:101], s[4:5], v[173:174]
	v_add_f64_e64 v[173:174], v[88:89], -v[6:7]
	v_fma_f64 v[6:7], v[254:255], s[8:9], v[246:247]
	v_fma_f64 v[167:168], v[133:134], s[0:1], v[54:55]
	;; [unrolled: 1-line block ×14, first 2 shown]
	scratch_store_b128 off, v[2:5], off offset:48 ; 16-byte Folded Spill
	v_fma_f64 v[2:3], v[234:235], s[4:5], v[10:11]
	v_fma_f64 v[234:235], v[117:118], s[10:11], v[94:95]
	;; [unrolled: 1-line block ×14, first 2 shown]
	v_add_f64_e32 v[14:15], v[129:130], v[14:15]
	v_fma_f64 v[187:188], v[86:87], s[0:1], v[46:47]
	v_add_f64_e32 v[46:47], v[74:75], v[119:120]
	v_add_f64_e32 v[137:138], v[102:103], v[205:206]
	v_fma_f64 v[50:51], v[22:23], s[2:3], v[50:51]
	v_fma_f64 v[28:29], v[28:29], s[4:5], v[240:241]
	;; [unrolled: 1-line block ×12, first 2 shown]
	v_add_f64_e32 v[129:130], v[125:126], v[114:115]
	v_fma_f64 v[123:124], v[26:27], s[0:1], v[143:144]
	v_add_f64_e32 v[102:103], v[34:35], v[106:107]
	v_fma_f64 v[92:93], v[183:184], s[0:1], v[30:31]
	v_fma_f64 v[139:140], v[135:136], s[2:3], v[177:178]
	;; [unrolled: 1-line block ×3, first 2 shown]
	scratch_store_b128 off, v[40:43], off offset:32 ; 16-byte Folded Spill
	v_fma_f64 v[42:43], v[141:142], s[0:1], v[52:53]
	v_fma_f64 v[52:53], v[155:156], s[0:1], v[76:77]
	;; [unrolled: 1-line block ×5, first 2 shown]
	scratch_load_b64 v[2:3], off, off offset:64 th:TH_LOAD_LU ; 8-byte Folded Reload
	v_fma_f64 v[40:41], v[159:160], s[0:1], v[195:196]
	v_fma_f64 v[10:11], v[117:118], s[4:5], v[10:11]
	;; [unrolled: 1-line block ×10, first 2 shown]
	v_mul_hi_u32 v6, 0x5397829d, v220
	v_add_nc_u32_e32 v16, 56, v220
	v_add_f64_e32 v[131:132], v[121:122], v[46:47]
	v_fma_f64 v[119:120], v[26:27], s[0:1], v[50:51]
	v_fma_f64 v[127:128], v[185:186], s[0:1], v[28:29]
	v_add_f64_e32 v[62:63], v[104:105], v[110:111]
	v_add_f64_e32 v[104:105], v[98:99], v[169:170]
	v_fma_f64 v[98:99], v[145:146], s[0:1], v[212:213]
	v_lshrrev_b32_e32 v6, 7, v6
	v_fma_f64 v[108:109], v[216:217], s[0:1], v[20:21]
	v_fma_f64 v[76:77], v[250:251], s[0:1], v[100:101]
	v_fma_f64 v[100:101], v[230:231], s[0:1], v[179:180]
	v_fma_f64 v[90:91], v[232:233], s[0:1], v[38:39]
	v_fma_f64 v[96:97], v[230:231], s[0:1], v[48:49]
	v_fma_f64 v[72:73], v[250:251], s[0:1], v[227:228]
	v_fma_f64 v[199:200], v[171:172], s[0:1], v[214:215]
	v_fma_f64 v[117:118], v[137:138], s[0:1], v[141:142]
	v_fma_f64 v[121:122], v[137:138], s[0:1], v[32:33]
	v_fma_f64 v[125:126], v[14:15], s[0:1], v[133:134]
	v_fma_f64 v[133:134], v[14:15], s[0:1], v[10:11]
	v_mul_hi_u32 v14, 0x5397829d, v16
	v_mul_u32_u24_e32 v10, 0x188, v6
	v_lshlrev_b64_e32 v[6:7], 4, v[56:57]
	s_delay_alu instid0(VALU_DEP_1) | instskip(SKIP_1) | instid1(VALU_DEP_2)
	v_add_co_u32 v6, vcc_lo, s6, v6
	s_wait_alu 0xfffd
	v_add_co_ci_u32_e32 v7, vcc_lo, s7, v7, vcc_lo
	s_wait_loadcnt 0x2
	v_add_f64_e32 v[155:156], v[82:83], v[236:237]
	v_fma_f64 v[82:83], v[153:154], s[0:1], v[12:13]
	v_add_f64_e32 v[12:13], v[242:243], v[88:89]
	v_fma_f64 v[88:89], v[183:184], s[0:1], v[18:19]
	s_wait_loadcnt 0x1
	v_add_f64_e32 v[147:148], v[78:79], v[225:226]
	v_fma_f64 v[78:79], v[153:154], s[0:1], v[252:253]
	v_fma_f64 v[141:142], v[155:156], s[0:1], v[157:158]
	v_fma_f64 v[137:138], v[155:156], s[0:1], v[0:1]
	v_add_f64_e32 v[145:146], v[12:13], v[163:164]
	v_lshrrev_b32_e32 v13, 7, v14
	v_sub_nc_u32_e32 v12, v220, v10
	v_lshlrev_b64_e32 v[10:11], 4, v[210:211]
	v_mov_b32_e32 v1, v116
	s_delay_alu instid0(VALU_DEP_4) | instskip(NEXT) | instid1(VALU_DEP_4)
	v_mul_u32_u24_e32 v14, 0x188, v13
	v_lshlrev_b32_e32 v12, 4, v12
	s_delay_alu instid0(VALU_DEP_4) | instskip(NEXT) | instid1(VALU_DEP_3)
	v_add_co_u32 v56, vcc_lo, v6, v10
	v_sub_nc_u32_e32 v10, v16, v14
	s_wait_alu 0xfffd
	v_add_co_ci_u32_e32 v57, vcc_lo, v7, v11, vcc_lo
	s_delay_alu instid0(VALU_DEP_3) | instskip(NEXT) | instid1(VALU_DEP_3)
	v_add_co_u32 v6, vcc_lo, v56, v12
	v_mad_u32_u24 v115, 0x7a8, v13, v10
	s_wait_alu 0xfffd
	s_delay_alu instid0(VALU_DEP_3)
	v_add_co_ci_u32_e32 v7, vcc_lo, 0, v57, vcc_lo
	s_clause 0x1
	global_store_b128 v[6:7], v[129:132], off
	global_store_b128 v[6:7], v[125:128], off offset:6272
	v_add_nc_u32_e32 v0, 0x188, v115
	s_clause 0x2
	global_store_b128 v[6:7], v[121:124], off offset:12544
	global_store_b128 v[6:7], v[117:120], off offset:18816
	;; [unrolled: 1-line block ×3, first 2 shown]
	v_dual_mov_b32 v7, v116 :: v_dual_add_nc_u32 v6, 0x498, v115
	v_add_nc_u32_e32 v10, 0xa8, v220
	v_lshlrev_b64_e32 v[0:1], 4, v[0:1]
	v_fma_f64 v[139:140], v[147:148], s[0:1], v[139:140]
	v_fma_f64 v[143:144], v[147:148], s[0:1], v[44:45]
	v_add_f64_e32 v[147:148], v[203:204], v[36:37]
	s_wait_loadcnt 0x0
	v_add_f64_e32 v[2:3], v[2:3], v[173:174]
	s_delay_alu instid0(VALU_DEP_1) | instskip(SKIP_4) | instid1(VALU_DEP_4)
	v_fma_f64 v[110:111], v[2:3], s[0:1], v[8:9]
	v_add_nc_u32_e32 v8, 0x70, v220
	v_fma_f64 v[106:107], v[2:3], s[0:1], v[4:5]
	v_lshlrev_b64_e32 v[2:3], 4, v[115:116]
	v_dual_mov_b32 v5, v116 :: v_dual_add_nc_u32 v4, 0x310, v115
	v_mul_hi_u32 v9, 0x5397829d, v8
	v_add_nc_u32_e32 v115, 0x620, v115
	s_delay_alu instid0(VALU_DEP_4)
	v_add_co_u32 v2, vcc_lo, v56, v2
	s_wait_alu 0xfffd
	v_add_co_ci_u32_e32 v3, vcc_lo, v57, v3, vcc_lo
	v_add_co_u32 v0, vcc_lo, v56, v0
	v_lshrrev_b32_e32 v9, 7, v9
	s_wait_alu 0xfffd
	v_add_co_ci_u32_e32 v1, vcc_lo, v57, v1, vcc_lo
	s_clause 0x1
	global_store_b128 v[2:3], v[145:148], off
	global_store_b128 v[0:1], v[141:144], off
	v_lshlrev_b64_e32 v[0:1], 4, v[6:7]
	v_mul_u32_u24_e32 v6, 0x188, v9
	v_lshlrev_b64_e32 v[4:5], 4, v[4:5]
	s_delay_alu instid0(VALU_DEP_2) | instskip(NEXT) | instid1(VALU_DEP_2)
	v_sub_nc_u32_e32 v6, v8, v6
	v_add_co_u32 v2, vcc_lo, v56, v4
	s_wait_alu 0xfffd
	s_delay_alu instid0(VALU_DEP_3)
	v_add_co_ci_u32_e32 v3, vcc_lo, v57, v5, vcc_lo
	v_lshlrev_b64_e32 v[4:5], 4, v[115:116]
	v_mad_u32_u24 v115, 0x7a8, v9, v6
	v_add_co_u32 v0, vcc_lo, v56, v0
	s_wait_alu 0xfffd
	v_add_co_ci_u32_e32 v1, vcc_lo, v57, v1, vcc_lo
	s_delay_alu instid0(VALU_DEP_3)
	v_lshlrev_b64_e32 v[8:9], 4, v[115:116]
	v_add_co_u32 v4, vcc_lo, v56, v4
	v_add_nc_u32_e32 v6, 0x188, v115
	s_wait_alu 0xfffd
	v_add_co_ci_u32_e32 v5, vcc_lo, v57, v5, vcc_lo
	s_clause 0x2
	global_store_b128 v[2:3], v[110:113], off
	global_store_b128 v[0:1], v[106:109], off
	;; [unrolled: 1-line block ×3, first 2 shown]
	v_add_co_u32 v2, vcc_lo, v56, v8
	v_mul_hi_u32 v8, 0x5397829d, v10
	v_lshlrev_b64_e32 v[0:1], 4, v[6:7]
	s_wait_alu 0xfffd
	v_add_co_ci_u32_e32 v3, vcc_lo, v57, v9, vcc_lo
	v_add_nc_u32_e32 v6, 0x498, v115
	v_dual_mov_b32 v5, v116 :: v_dual_add_nc_u32 v4, 0x310, v115
	s_delay_alu instid0(VALU_DEP_4)
	v_add_co_u32 v0, vcc_lo, v56, v0
	v_lshrrev_b32_e32 v8, 7, v8
	s_wait_alu 0xfffd
	v_add_co_ci_u32_e32 v1, vcc_lo, v57, v1, vcc_lo
	s_clause 0x1
	global_store_b128 v[2:3], v[102:105], off
	global_store_b128 v[0:1], v[98:101], off
	v_lshlrev_b64_e32 v[0:1], 4, v[6:7]
	v_mul_u32_u24_e32 v6, 0x188, v8
	v_lshlrev_b64_e32 v[4:5], 4, v[4:5]
	v_add_nc_u32_e32 v115, 0x620, v115
	s_delay_alu instid0(VALU_DEP_3) | instskip(SKIP_1) | instid1(VALU_DEP_4)
	v_sub_nc_u32_e32 v6, v10, v6
	v_add_nc_u32_e32 v10, 0xe0, v220
	v_add_co_u32 v2, vcc_lo, v56, v4
	s_wait_alu 0xfffd
	v_add_co_ci_u32_e32 v3, vcc_lo, v57, v5, vcc_lo
	v_lshlrev_b64_e32 v[4:5], 4, v[115:116]
	v_mad_u32_u24 v115, 0x7a8, v8, v6
	v_add_co_u32 v0, vcc_lo, v56, v0
	s_wait_alu 0xfffd
	v_add_co_ci_u32_e32 v1, vcc_lo, v57, v1, vcc_lo
	s_delay_alu instid0(VALU_DEP_4)
	v_add_co_u32 v4, vcc_lo, v56, v4
	v_add_nc_u32_e32 v6, 0x188, v115
	s_wait_alu 0xfffd
	v_add_co_ci_u32_e32 v5, vcc_lo, v57, v5, vcc_lo
	v_lshlrev_b64_e32 v[8:9], 4, v[115:116]
	s_clause 0x2
	global_store_b128 v[2:3], v[90:93], off
	global_store_b128 v[0:1], v[86:89], off
	;; [unrolled: 1-line block ×3, first 2 shown]
	v_lshlrev_b64_e32 v[0:1], 4, v[6:7]
	v_dual_mov_b32 v5, v116 :: v_dual_add_nc_u32 v4, 0x310, v115
	v_add_nc_u32_e32 v6, 0x498, v115
	v_add_co_u32 v2, vcc_lo, v56, v8
	s_wait_alu 0xfffd
	v_add_co_ci_u32_e32 v3, vcc_lo, v57, v9, vcc_lo
	v_add_co_u32 v0, vcc_lo, v56, v0
	v_lshlrev_b64_e32 v[4:5], 4, v[4:5]
	s_wait_alu 0xfffd
	v_add_co_ci_u32_e32 v1, vcc_lo, v57, v1, vcc_lo
	v_add_nc_u32_e32 v115, 0x620, v115
	s_clause 0x1
	global_store_b128 v[2:3], v[62:65], off
	global_store_b128 v[0:1], v[82:85], off
	v_lshlrev_b64_e32 v[0:1], 4, v[6:7]
	v_add_co_u32 v2, vcc_lo, v56, v4
	s_wait_alu 0xfffd
	v_add_co_ci_u32_e32 v3, vcc_lo, v57, v5, vcc_lo
	v_lshlrev_b64_e32 v[4:5], 4, v[115:116]
	s_delay_alu instid0(VALU_DEP_4) | instskip(SKIP_3) | instid1(VALU_DEP_4)
	v_add_co_u32 v0, vcc_lo, v56, v0
	s_wait_alu 0xfffd
	v_add_co_ci_u32_e32 v1, vcc_lo, v57, v1, vcc_lo
	v_mul_hi_u32 v8, 0x5397829d, v10
	v_add_co_u32 v4, vcc_lo, v56, v4
	s_wait_alu 0xfffd
	v_add_co_ci_u32_e32 v5, vcc_lo, v57, v5, vcc_lo
	s_clause 0x2
	global_store_b128 v[2:3], v[74:77], off
	global_store_b128 v[0:1], v[70:73], off
	;; [unrolled: 1-line block ×3, first 2 shown]
	scratch_load_b128 v[11:14], off, off offset:48 th:TH_LOAD_LU ; 16-byte Folded Reload
	v_lshrrev_b32_e32 v8, 7, v8
	v_mov_b32_e32 v5, v116
	s_delay_alu instid0(VALU_DEP_2) | instskip(NEXT) | instid1(VALU_DEP_1)
	v_mul_u32_u24_e32 v6, 0x188, v8
	v_sub_nc_u32_e32 v6, v10, v6
	v_add_nc_u32_e32 v10, 0x118, v220
	s_delay_alu instid0(VALU_DEP_2) | instskip(NEXT) | instid1(VALU_DEP_1)
	v_mad_u32_u24 v115, 0x7a8, v8, v6
	v_add_nc_u32_e32 v6, 0x188, v115
	v_lshlrev_b64_e32 v[8:9], 4, v[115:116]
	v_add_nc_u32_e32 v4, 0x310, v115
	s_delay_alu instid0(VALU_DEP_3) | instskip(SKIP_1) | instid1(VALU_DEP_4)
	v_lshlrev_b64_e32 v[0:1], 4, v[6:7]
	v_add_nc_u32_e32 v6, 0x498, v115
	v_add_co_u32 v2, vcc_lo, v56, v8
	s_wait_alu 0xfffd
	v_add_co_ci_u32_e32 v3, vcc_lo, v57, v9, vcc_lo
	s_delay_alu instid0(VALU_DEP_4)
	v_add_co_u32 v0, vcc_lo, v56, v0
	v_lshlrev_b64_e32 v[4:5], 4, v[4:5]
	s_wait_alu 0xfffd
	v_add_co_ci_u32_e32 v1, vcc_lo, v57, v1, vcc_lo
	v_add_nc_u32_e32 v115, 0x620, v115
	v_mul_hi_u32 v8, 0x5397829d, v10
	s_wait_loadcnt 0x0
	s_clause 0x1
	global_store_b128 v[2:3], v[11:14], off
	global_store_b128 v[0:1], v[66:69], off
	v_lshlrev_b64_e32 v[0:1], 4, v[6:7]
	v_add_co_u32 v2, vcc_lo, v56, v4
	s_wait_alu 0xfffd
	v_add_co_ci_u32_e32 v3, vcc_lo, v57, v5, vcc_lo
	v_lshlrev_b64_e32 v[4:5], 4, v[115:116]
	s_delay_alu instid0(VALU_DEP_4) | instskip(SKIP_3) | instid1(VALU_DEP_4)
	v_add_co_u32 v0, vcc_lo, v56, v0
	s_wait_alu 0xfffd
	v_add_co_ci_u32_e32 v1, vcc_lo, v57, v1, vcc_lo
	v_lshrrev_b32_e32 v8, 7, v8
	v_add_co_u32 v4, vcc_lo, v56, v4
	s_wait_alu 0xfffd
	v_add_co_ci_u32_e32 v5, vcc_lo, v57, v5, vcc_lo
	s_clause 0x2
	global_store_b128 v[2:3], v[52:55], off
	global_store_b128 v[0:1], v[197:200], off
	;; [unrolled: 1-line block ×3, first 2 shown]
	scratch_load_b128 v[11:14], off, off offset:16 th:TH_LOAD_LU ; 16-byte Folded Reload
	v_mul_u32_u24_e32 v6, 0x188, v8
	v_mov_b32_e32 v5, v116
	s_delay_alu instid0(VALU_DEP_2) | instskip(SKIP_1) | instid1(VALU_DEP_2)
	v_sub_nc_u32_e32 v6, v10, v6
	v_add_nc_u32_e32 v10, 0x150, v220
	v_mad_u32_u24 v115, 0x7a8, v8, v6
	s_delay_alu instid0(VALU_DEP_1) | instskip(SKIP_2) | instid1(VALU_DEP_3)
	v_add_nc_u32_e32 v6, 0x188, v115
	v_lshlrev_b64_e32 v[8:9], 4, v[115:116]
	v_add_nc_u32_e32 v4, 0x310, v115
	v_lshlrev_b64_e32 v[0:1], 4, v[6:7]
	v_add_nc_u32_e32 v6, 0x498, v115
	s_delay_alu instid0(VALU_DEP_4) | instskip(SKIP_2) | instid1(VALU_DEP_4)
	v_add_co_u32 v2, vcc_lo, v56, v8
	s_wait_alu 0xfffd
	v_add_co_ci_u32_e32 v3, vcc_lo, v57, v9, vcc_lo
	v_add_co_u32 v0, vcc_lo, v56, v0
	v_mul_hi_u32 v8, 0x5397829d, v10
	s_wait_alu 0xfffd
	v_add_co_ci_u32_e32 v1, vcc_lo, v57, v1, vcc_lo
	v_lshlrev_b64_e32 v[4:5], 4, v[4:5]
	v_add_nc_u32_e32 v115, 0x620, v115
	s_wait_loadcnt 0x0
	s_clause 0x1
	global_store_b128 v[2:3], v[11:14], off
	global_store_b128 v[0:1], v[40:43], off
	v_lshlrev_b64_e32 v[0:1], 4, v[6:7]
	v_lshrrev_b32_e32 v8, 7, v8
	v_add_co_u32 v2, vcc_lo, v56, v4
	s_wait_alu 0xfffd
	v_add_co_ci_u32_e32 v3, vcc_lo, v57, v5, vcc_lo
	s_delay_alu instid0(VALU_DEP_4)
	v_add_co_u32 v0, vcc_lo, v56, v0
	v_mul_u32_u24_e32 v6, 0x188, v8
	s_wait_alu 0xfffd
	v_add_co_ci_u32_e32 v1, vcc_lo, v57, v1, vcc_lo
	s_clause 0x1
	global_store_b128 v[2:3], v[165:168], off
	global_store_b128 v[0:1], v[149:152], off
	v_sub_nc_u32_e32 v6, v10, v6
	scratch_load_b128 v[10:13], off, off th:TH_LOAD_LU ; 16-byte Folded Reload
	v_lshlrev_b64_e32 v[4:5], 4, v[115:116]
	v_mad_u32_u24 v115, 0x7a8, v8, v6
	s_delay_alu instid0(VALU_DEP_2) | instskip(SKIP_1) | instid1(VALU_DEP_3)
	v_add_co_u32 v4, vcc_lo, v56, v4
	s_wait_alu 0xfffd
	v_add_co_ci_u32_e32 v5, vcc_lo, v57, v5, vcc_lo
	s_delay_alu instid0(VALU_DEP_3)
	v_add_nc_u32_e32 v6, 0x188, v115
	v_lshlrev_b64_e32 v[0:1], 4, v[115:116]
	global_store_b128 v[4:5], v[58:61], off
	v_dual_mov_b32 v5, v116 :: v_dual_add_nc_u32 v4, 0x310, v115
	v_lshlrev_b64_e32 v[2:3], 4, v[6:7]
	v_add_nc_u32_e32 v6, 0x498, v115
	v_add_co_u32 v0, vcc_lo, v56, v0
	s_delay_alu instid0(VALU_DEP_4)
	v_lshlrev_b64_e32 v[4:5], 4, v[4:5]
	s_wait_alu 0xfffd
	v_add_co_ci_u32_e32 v1, vcc_lo, v57, v1, vcc_lo
	v_add_co_u32 v2, vcc_lo, v56, v2
	v_lshlrev_b64_e32 v[6:7], 4, v[6:7]
	s_wait_alu 0xfffd
	v_add_co_ci_u32_e32 v3, vcc_lo, v57, v3, vcc_lo
	v_add_co_u32 v4, vcc_lo, v56, v4
	s_wait_alu 0xfffd
	v_add_co_ci_u32_e32 v5, vcc_lo, v57, v5, vcc_lo
	v_add_co_u32 v6, vcc_lo, v56, v6
	s_wait_alu 0xfffd
	v_add_co_ci_u32_e32 v7, vcc_lo, v57, v7, vcc_lo
	v_add_nc_u32_e32 v115, 0x620, v115
	s_wait_loadcnt 0x0
	s_clause 0x3
	global_store_b128 v[0:1], v[10:13], off
	global_store_b128 v[2:3], v[22:25], off
	;; [unrolled: 1-line block ×4, first 2 shown]
	scratch_load_b128 v[0:3], off, off offset:32 th:TH_LOAD_LU ; 16-byte Folded Reload
	v_lshlrev_b64_e32 v[8:9], 4, v[115:116]
	s_delay_alu instid0(VALU_DEP_1) | instskip(SKIP_1) | instid1(VALU_DEP_2)
	v_add_co_u32 v8, vcc_lo, v56, v8
	s_wait_alu 0xfffd
	v_add_co_ci_u32_e32 v9, vcc_lo, v57, v9, vcc_lo
	s_wait_loadcnt 0x0
	global_store_b128 v[8:9], v[0:3], off
.LBB0_29:
	s_endpgm
	.section	.rodata,"a",@progbits
	.p2align	6, 0x0
	.amdhsa_kernel fft_rtc_back_len1960_factors_4_7_2_7_5_wgs_56_tpt_56_halfLds_dp_op_CI_CI_unitstride_sbrr_dirReg
		.amdhsa_group_segment_fixed_size 0
		.amdhsa_private_segment_fixed_size 108
		.amdhsa_kernarg_size 104
		.amdhsa_user_sgpr_count 2
		.amdhsa_user_sgpr_dispatch_ptr 0
		.amdhsa_user_sgpr_queue_ptr 0
		.amdhsa_user_sgpr_kernarg_segment_ptr 1
		.amdhsa_user_sgpr_dispatch_id 0
		.amdhsa_user_sgpr_private_segment_size 0
		.amdhsa_wavefront_size32 1
		.amdhsa_uses_dynamic_stack 0
		.amdhsa_enable_private_segment 1
		.amdhsa_system_sgpr_workgroup_id_x 1
		.amdhsa_system_sgpr_workgroup_id_y 0
		.amdhsa_system_sgpr_workgroup_id_z 0
		.amdhsa_system_sgpr_workgroup_info 0
		.amdhsa_system_vgpr_workitem_id 0
		.amdhsa_next_free_vgpr 256
		.amdhsa_next_free_sgpr 39
		.amdhsa_reserve_vcc 1
		.amdhsa_float_round_mode_32 0
		.amdhsa_float_round_mode_16_64 0
		.amdhsa_float_denorm_mode_32 3
		.amdhsa_float_denorm_mode_16_64 3
		.amdhsa_fp16_overflow 0
		.amdhsa_workgroup_processor_mode 1
		.amdhsa_memory_ordered 1
		.amdhsa_forward_progress 0
		.amdhsa_round_robin_scheduling 0
		.amdhsa_exception_fp_ieee_invalid_op 0
		.amdhsa_exception_fp_denorm_src 0
		.amdhsa_exception_fp_ieee_div_zero 0
		.amdhsa_exception_fp_ieee_overflow 0
		.amdhsa_exception_fp_ieee_underflow 0
		.amdhsa_exception_fp_ieee_inexact 0
		.amdhsa_exception_int_div_zero 0
	.end_amdhsa_kernel
	.text
.Lfunc_end0:
	.size	fft_rtc_back_len1960_factors_4_7_2_7_5_wgs_56_tpt_56_halfLds_dp_op_CI_CI_unitstride_sbrr_dirReg, .Lfunc_end0-fft_rtc_back_len1960_factors_4_7_2_7_5_wgs_56_tpt_56_halfLds_dp_op_CI_CI_unitstride_sbrr_dirReg
                                        ; -- End function
	.section	.AMDGPU.csdata,"",@progbits
; Kernel info:
; codeLenInByte = 24056
; NumSgprs: 41
; NumVgprs: 256
; ScratchSize: 108
; MemoryBound: 1
; FloatMode: 240
; IeeeMode: 1
; LDSByteSize: 0 bytes/workgroup (compile time only)
; SGPRBlocks: 5
; VGPRBlocks: 31
; NumSGPRsForWavesPerEU: 41
; NumVGPRsForWavesPerEU: 256
; Occupancy: 5
; WaveLimiterHint : 1
; COMPUTE_PGM_RSRC2:SCRATCH_EN: 1
; COMPUTE_PGM_RSRC2:USER_SGPR: 2
; COMPUTE_PGM_RSRC2:TRAP_HANDLER: 0
; COMPUTE_PGM_RSRC2:TGID_X_EN: 1
; COMPUTE_PGM_RSRC2:TGID_Y_EN: 0
; COMPUTE_PGM_RSRC2:TGID_Z_EN: 0
; COMPUTE_PGM_RSRC2:TIDIG_COMP_CNT: 0
	.text
	.p2alignl 7, 3214868480
	.fill 96, 4, 3214868480
	.type	__hip_cuid_1b52f0acc9b30e54,@object ; @__hip_cuid_1b52f0acc9b30e54
	.section	.bss,"aw",@nobits
	.globl	__hip_cuid_1b52f0acc9b30e54
__hip_cuid_1b52f0acc9b30e54:
	.byte	0                               ; 0x0
	.size	__hip_cuid_1b52f0acc9b30e54, 1

	.ident	"AMD clang version 19.0.0git (https://github.com/RadeonOpenCompute/llvm-project roc-6.4.0 25133 c7fe45cf4b819c5991fe208aaa96edf142730f1d)"
	.section	".note.GNU-stack","",@progbits
	.addrsig
	.addrsig_sym __hip_cuid_1b52f0acc9b30e54
	.amdgpu_metadata
---
amdhsa.kernels:
  - .args:
      - .actual_access:  read_only
        .address_space:  global
        .offset:         0
        .size:           8
        .value_kind:     global_buffer
      - .offset:         8
        .size:           8
        .value_kind:     by_value
      - .actual_access:  read_only
        .address_space:  global
        .offset:         16
        .size:           8
        .value_kind:     global_buffer
      - .actual_access:  read_only
        .address_space:  global
        .offset:         24
        .size:           8
        .value_kind:     global_buffer
      - .actual_access:  read_only
        .address_space:  global
        .offset:         32
        .size:           8
        .value_kind:     global_buffer
      - .offset:         40
        .size:           8
        .value_kind:     by_value
      - .actual_access:  read_only
        .address_space:  global
        .offset:         48
        .size:           8
        .value_kind:     global_buffer
      - .actual_access:  read_only
        .address_space:  global
        .offset:         56
        .size:           8
        .value_kind:     global_buffer
      - .offset:         64
        .size:           4
        .value_kind:     by_value
      - .actual_access:  read_only
        .address_space:  global
        .offset:         72
        .size:           8
        .value_kind:     global_buffer
      - .actual_access:  read_only
        .address_space:  global
        .offset:         80
        .size:           8
        .value_kind:     global_buffer
      - .actual_access:  read_only
        .address_space:  global
        .offset:         88
        .size:           8
        .value_kind:     global_buffer
      - .actual_access:  write_only
        .address_space:  global
        .offset:         96
        .size:           8
        .value_kind:     global_buffer
    .group_segment_fixed_size: 0
    .kernarg_segment_align: 8
    .kernarg_segment_size: 104
    .language:       OpenCL C
    .language_version:
      - 2
      - 0
    .max_flat_workgroup_size: 56
    .name:           fft_rtc_back_len1960_factors_4_7_2_7_5_wgs_56_tpt_56_halfLds_dp_op_CI_CI_unitstride_sbrr_dirReg
    .private_segment_fixed_size: 108
    .sgpr_count:     41
    .sgpr_spill_count: 0
    .symbol:         fft_rtc_back_len1960_factors_4_7_2_7_5_wgs_56_tpt_56_halfLds_dp_op_CI_CI_unitstride_sbrr_dirReg.kd
    .uniform_work_group_size: 1
    .uses_dynamic_stack: false
    .vgpr_count:     256
    .vgpr_spill_count: 58
    .wavefront_size: 32
    .workgroup_processor_mode: 1
amdhsa.target:   amdgcn-amd-amdhsa--gfx1201
amdhsa.version:
  - 1
  - 2
...

	.end_amdgpu_metadata
